;; amdgpu-corpus repo=ROCm/rocFFT kind=compiled arch=gfx906 opt=O3
	.text
	.amdgcn_target "amdgcn-amd-amdhsa--gfx906"
	.amdhsa_code_object_version 6
	.protected	bluestein_single_fwd_len2400_dim1_dp_op_CI_CI ; -- Begin function bluestein_single_fwd_len2400_dim1_dp_op_CI_CI
	.globl	bluestein_single_fwd_len2400_dim1_dp_op_CI_CI
	.p2align	8
	.type	bluestein_single_fwd_len2400_dim1_dp_op_CI_CI,@function
bluestein_single_fwd_len2400_dim1_dp_op_CI_CI: ; @bluestein_single_fwd_len2400_dim1_dp_op_CI_CI
; %bb.0:
	s_load_dwordx4 s[12:15], s[4:5], 0x28
	v_mul_u32_u24_e32 v1, 0x112, v0
	v_add_u32_sdwa v192, s6, v1 dst_sel:DWORD dst_unused:UNUSED_PAD src0_sel:DWORD src1_sel:WORD_1
	v_mov_b32_e32 v193, 0
	s_waitcnt lgkmcnt(0)
	v_cmp_gt_u64_e32 vcc, s[12:13], v[192:193]
	s_and_saveexec_b64 s[0:1], vcc
	s_cbranch_execz .LBB0_23
; %bb.1:
	s_load_dwordx4 s[0:3], s[4:5], 0x18
	s_load_dwordx2 s[16:17], s[4:5], 0x0
	s_waitcnt lgkmcnt(0)
	s_load_dwordx4 s[8:11], s[0:1], 0x0
	s_movk_i32 s0, 0xf0
	v_mul_lo_u16_sdwa v1, v1, s0 dst_sel:DWORD dst_unused:UNUSED_PAD src0_sel:WORD_1 src1_sel:DWORD
	v_sub_u16_e32 v196, v0, v1
	v_lshlrev_b32_e32 v193, 4, v196
	s_waitcnt lgkmcnt(0)
	v_mad_u64_u32 v[0:1], s[0:1], s10, v192, 0
	v_mad_u64_u32 v[2:3], s[0:1], s8, v196, 0
	v_add_co_u32_e64 v194, s[6:7], s16, v193
	v_mad_u64_u32 v[4:5], s[0:1], s11, v192, v[1:2]
	v_mad_u64_u32 v[5:6], s[0:1], s9, v196, v[3:4]
	v_mov_b32_e32 v1, v4
	v_lshlrev_b64 v[0:1], 4, v[0:1]
	v_mov_b32_e32 v6, s15
	v_mov_b32_e32 v3, v5
	v_add_co_u32_e32 v4, vcc, s14, v0
	v_addc_co_u32_e32 v5, vcc, v6, v1, vcc
	v_lshlrev_b64 v[0:1], 4, v[2:3]
	s_mul_i32 s0, s9, 0x258
	s_mul_hi_u32 s1, s8, 0x258
	v_add_co_u32_e32 v0, vcc, v4, v0
	v_mov_b32_e32 v2, s17
	s_add_i32 s1, s1, s0
	s_mul_i32 s0, s8, 0x258
	v_addc_co_u32_e32 v1, vcc, v5, v1, vcc
	v_addc_co_u32_e64 v195, vcc, 0, v2, s[6:7]
	s_lshl_b64 s[14:15], s[0:1], 4
	v_mov_b32_e32 v26, s15
	v_add_co_u32_e32 v4, vcc, s14, v0
	v_addc_co_u32_e32 v5, vcc, v1, v26, vcc
	s_movk_i32 s0, 0x2000
	global_load_dwordx4 v[36:39], v[0:1], off
	global_load_dwordx4 v[40:43], v[4:5], off
	v_add_co_u32_e32 v0, vcc, s0, v194
	v_addc_co_u32_e32 v1, vcc, 0, v195, vcc
	v_add_co_u32_e32 v8, vcc, s14, v4
	v_addc_co_u32_e32 v9, vcc, v5, v26, vcc
	s_movk_i32 s0, 0x4000
	v_add_co_u32_e32 v32, vcc, s0, v194
	v_addc_co_u32_e32 v33, vcc, 0, v195, vcc
	v_add_co_u32_e32 v12, vcc, s14, v8
	v_addc_co_u32_e32 v13, vcc, v9, v26, vcc
	s_movk_i32 s0, 0x7000
	s_mul_hi_u32 s1, s8, 0xfffff9e8
	v_add_co_u32_e32 v68, vcc, s0, v194
	s_mul_i32 s0, s9, 0xfffff9e8
	s_sub_i32 s1, s1, s8
	s_add_i32 s1, s1, s0
	s_mul_i32 s0, s8, 0xfffff9e8
	v_addc_co_u32_e32 v69, vcc, 0, v195, vcc
	s_lshl_b64 s[18:19], s[0:1], 4
	v_mov_b32_e32 v14, s19
	v_add_co_u32_e32 v16, vcc, s18, v12
	v_addc_co_u32_e32 v17, vcc, v13, v14, vcc
	global_load_dwordx4 v[0:3], v[0:1], off offset:1408
	v_add_co_u32_e32 v20, vcc, s14, v16
	global_load_dwordx4 v[44:47], v[8:9], off
	global_load_dwordx4 v[48:51], v[12:13], off
	global_load_dwordx4 v[4:7], v[32:33], off offset:2816
	v_addc_co_u32_e32 v21, vcc, v17, v26, vcc
	global_load_dwordx4 v[8:11], v[68:69], off offset:128
	global_load_dwordx4 v[52:55], v[16:17], off
	global_load_dwordx4 v[28:31], v193, s[16:17]
	global_load_dwordx4 v[12:15], v193, s[16:17] offset:3840
	s_movk_i32 s0, 0x3000
	v_add_co_u32_e32 v16, vcc, s0, v194
	v_addc_co_u32_e32 v17, vcc, 0, v195, vcc
	v_add_co_u32_e32 v24, vcc, s14, v20
	v_addc_co_u32_e32 v25, vcc, v21, v26, vcc
	s_movk_i32 s0, 0x5000
	global_load_dwordx4 v[56:59], v[20:21], off
	v_add_co_u32_e32 v20, vcc, s0, v194
	v_addc_co_u32_e32 v21, vcc, 0, v195, vcc
	global_load_dwordx4 v[16:19], v[16:17], off offset:1152
	v_add_co_u32_e32 v34, vcc, s14, v24
	global_load_dwordx4 v[60:63], v[24:25], off
	v_addc_co_u32_e32 v35, vcc, v25, v26, vcc
	global_load_dwordx4 v[20:23], v[20:21], off offset:2560
	s_nop 0
	global_load_dwordx4 v[64:67], v[34:35], off
	global_load_dwordx4 v[24:27], v[68:69], off offset:3968
	s_load_dwordx2 s[12:13], s[4:5], 0x38
	s_load_dwordx4 s[8:11], s[2:3], 0x0
	s_movk_i32 s0, 0x78
	v_cmp_gt_u16_e64 s[0:1], s0, v196
	s_waitcnt vmcnt(13)
	v_mul_f64 v[72:73], v[42:43], v[2:3]
	v_mul_f64 v[74:75], v[40:41], v[2:3]
	s_waitcnt vmcnt(10)
	v_mul_f64 v[76:77], v[46:47], v[6:7]
	v_mul_f64 v[78:79], v[44:45], v[6:7]
	;; [unrolled: 3-line block ×3, first 2 shown]
	v_mul_f64 v[80:81], v[50:51], v[10:11]
	v_mul_f64 v[82:83], v[48:49], v[10:11]
	v_fma_f64 v[40:41], v[40:41], v[0:1], v[72:73]
	v_fma_f64 v[42:43], v[42:43], v[0:1], -v[74:75]
	v_fma_f64 v[44:45], v[44:45], v[4:5], v[76:77]
	v_fma_f64 v[46:47], v[46:47], v[4:5], -v[78:79]
	;; [unrolled: 2-line block ×3, first 2 shown]
	s_waitcnt vmcnt(6)
	v_mul_f64 v[68:69], v[54:55], v[14:15]
	v_mul_f64 v[70:71], v[52:53], v[14:15]
	v_fma_f64 v[48:49], v[48:49], v[8:9], v[80:81]
	v_fma_f64 v[50:51], v[50:51], v[8:9], -v[82:83]
	s_waitcnt vmcnt(4)
	v_mul_f64 v[72:73], v[58:59], v[18:19]
	v_mul_f64 v[74:75], v[56:57], v[18:19]
	v_fma_f64 v[52:53], v[52:53], v[12:13], v[68:69]
	v_fma_f64 v[54:55], v[54:55], v[12:13], -v[70:71]
	s_waitcnt vmcnt(2)
	v_mul_f64 v[76:77], v[62:63], v[22:23]
	v_mul_f64 v[78:79], v[60:61], v[22:23]
	s_waitcnt vmcnt(0)
	v_mul_f64 v[80:81], v[66:67], v[26:27]
	v_mul_f64 v[82:83], v[64:65], v[26:27]
	v_fma_f64 v[56:57], v[56:57], v[16:17], v[72:73]
	v_fma_f64 v[58:59], v[58:59], v[16:17], -v[74:75]
	v_fma_f64 v[60:61], v[60:61], v[20:21], v[76:77]
	v_fma_f64 v[62:63], v[62:63], v[20:21], -v[78:79]
	;; [unrolled: 2-line block ×3, first 2 shown]
	ds_write_b128 v193, v[36:39]
	ds_write_b128 v193, v[40:43] offset:9600
	ds_write_b128 v193, v[44:47] offset:19200
	;; [unrolled: 1-line block ×7, first 2 shown]
	s_and_saveexec_b64 s[2:3], s[0:1]
	s_cbranch_execz .LBB0_3
; %bb.2:
	v_mov_b32_e32 v36, s19
	v_add_co_u32_e32 v42, vcc, s18, v34
	v_addc_co_u32_e32 v43, vcc, v35, v36, vcc
	v_add_co_u32_e32 v38, vcc, 0x1000, v194
	v_addc_co_u32_e32 v39, vcc, 0, v195, vcc
	v_mov_b32_e32 v58, s15
	v_add_co_u32_e32 v50, vcc, s14, v42
	v_addc_co_u32_e32 v51, vcc, v43, v58, vcc
	global_load_dwordx4 v[34:37], v[42:43], off
	s_movk_i32 s15, 0x6000
	global_load_dwordx4 v[38:41], v[38:39], off offset:3584
	s_nop 0
	global_load_dwordx4 v[42:45], v[50:51], off
	global_load_dwordx4 v[46:49], v[32:33], off offset:896
	v_add_co_u32_e32 v32, vcc, s14, v50
	v_addc_co_u32_e32 v33, vcc, v51, v58, vcc
	v_add_co_u32_e32 v54, vcc, s15, v194
	v_addc_co_u32_e32 v55, vcc, 0, v195, vcc
	global_load_dwordx4 v[50:53], v[32:33], off
	v_add_co_u32_e32 v32, vcc, s14, v32
	v_addc_co_u32_e32 v33, vcc, v33, v58, vcc
	s_mov_b32 s14, 0x8000
	v_add_co_u32_e32 v66, vcc, s14, v194
	global_load_dwordx4 v[54:57], v[54:55], off offset:2304
	v_addc_co_u32_e32 v67, vcc, 0, v195, vcc
	global_load_dwordx4 v[58:61], v[66:67], off offset:3712
	global_load_dwordx4 v[62:65], v[32:33], off
	s_waitcnt vmcnt(6)
	v_mul_f64 v[32:33], v[36:37], v[40:41]
	v_mul_f64 v[40:41], v[34:35], v[40:41]
	s_waitcnt vmcnt(4)
	v_mul_f64 v[66:67], v[44:45], v[48:49]
	v_mul_f64 v[48:49], v[42:43], v[48:49]
	v_fma_f64 v[32:33], v[34:35], v[38:39], v[32:33]
	v_fma_f64 v[34:35], v[36:37], v[38:39], -v[40:41]
	v_fma_f64 v[36:37], v[42:43], v[46:47], v[66:67]
	v_fma_f64 v[38:39], v[44:45], v[46:47], -v[48:49]
	s_waitcnt vmcnt(2)
	v_mul_f64 v[68:69], v[52:53], v[56:57]
	v_mul_f64 v[56:57], v[50:51], v[56:57]
	s_waitcnt vmcnt(0)
	v_mul_f64 v[70:71], v[64:65], v[60:61]
	v_mul_f64 v[60:61], v[62:63], v[60:61]
	v_fma_f64 v[40:41], v[50:51], v[54:55], v[68:69]
	v_fma_f64 v[42:43], v[52:53], v[54:55], -v[56:57]
	v_fma_f64 v[44:45], v[62:63], v[58:59], v[70:71]
	v_fma_f64 v[46:47], v[64:65], v[58:59], -v[60:61]
	ds_write_b128 v193, v[32:35] offset:7680
	ds_write_b128 v193, v[36:39] offset:17280
	;; [unrolled: 1-line block ×4, first 2 shown]
.LBB0_3:
	s_or_b64 exec, exec, s[2:3]
	s_waitcnt lgkmcnt(0)
	s_barrier
	ds_read_b128 v[64:67], v193
	ds_read_b128 v[44:47], v193 offset:3840
	ds_read_b128 v[68:71], v193 offset:9600
	;; [unrolled: 1-line block ×7, first 2 shown]
	s_load_dwordx2 s[4:5], s[4:5], 0x8
                                        ; implicit-def: $vgpr36_vgpr37
                                        ; implicit-def: $vgpr52_vgpr53
                                        ; implicit-def: $vgpr48_vgpr49
                                        ; implicit-def: $vgpr32_vgpr33
	s_and_saveexec_b64 s[2:3], s[0:1]
	s_cbranch_execz .LBB0_5
; %bb.4:
	ds_read_b128 v[32:35], v193 offset:17280
	ds_read_b128 v[48:51], v193 offset:26880
	;; [unrolled: 1-line block ×4, first 2 shown]
.LBB0_5:
	s_or_b64 exec, exec, s[2:3]
	s_waitcnt lgkmcnt(0)
	v_add_f64 v[80:81], v[64:65], -v[76:77]
	v_add_f64 v[72:73], v[68:69], -v[72:73]
	;; [unrolled: 1-line block ×8, first 2 shown]
	v_fma_f64 v[64:65], v[64:65], 2.0, -v[80:81]
	v_fma_f64 v[68:69], v[68:69], 2.0, -v[72:73]
	;; [unrolled: 1-line block ×4, first 2 shown]
	v_add_f64 v[60:61], v[80:81], -v[74:75]
	v_add_f64 v[62:63], v[77:78], v[72:73]
	v_fma_f64 v[90:91], v[40:41], 2.0, -v[86:87]
	v_add_f64 v[40:41], v[36:37], -v[48:49]
	v_add_f64 v[72:73], v[32:33], -v[52:53]
	;; [unrolled: 1-line block ×3, first 2 shown]
	v_fma_f64 v[68:69], v[44:45], 2.0, -v[82:83]
	v_add_f64 v[58:59], v[66:67], -v[70:71]
	v_fma_f64 v[70:71], v[46:47], 2.0, -v[84:85]
	v_add_f64 v[74:75], v[34:35], -v[54:55]
	v_add_f64 v[52:53], v[82:83], -v[88:89]
	v_add_f64 v[54:55], v[84:85], v[86:87]
	v_fma_f64 v[36:37], v[36:37], 2.0, -v[40:41]
	v_fma_f64 v[44:45], v[64:65], 2.0, -v[56:57]
	;; [unrolled: 1-line block ×3, first 2 shown]
	v_add_f64 v[42:43], v[38:39], -v[50:51]
	v_add_f64 v[48:49], v[68:69], -v[90:91]
	v_fma_f64 v[86:87], v[32:33], 2.0, -v[72:73]
	v_fma_f64 v[88:89], v[34:35], 2.0, -v[74:75]
	;; [unrolled: 1-line block ×3, first 2 shown]
	v_add_f64 v[148:149], v[40:41], -v[74:75]
	v_fma_f64 v[32:33], v[80:81], 2.0, -v[60:61]
	v_add_f64 v[50:51], v[70:71], -v[64:65]
	v_fma_f64 v[38:39], v[38:39], 2.0, -v[42:43]
	v_fma_f64 v[64:65], v[68:69], 2.0, -v[48:49]
	v_add_f64 v[144:145], v[36:37], -v[86:87]
	v_add_f64 v[150:151], v[42:43], v[72:73]
	v_fma_f64 v[34:35], v[77:78], 2.0, -v[62:63]
	v_fma_f64 v[68:69], v[82:83], 2.0, -v[52:53]
	s_movk_i32 s2, 0xf0
	v_fma_f64 v[66:67], v[70:71], 2.0, -v[50:51]
	v_add_f64 v[146:147], v[38:39], -v[88:89]
	v_fma_f64 v[70:71], v[84:85], 2.0, -v[54:55]
	s_movk_i32 s3, 0x1e0
	v_add_co_u32_e32 v76, vcc, s2, v196
	v_add_co_u32_e32 v79, vcc, s3, v196
	v_lshlrev_b16_e32 v72, 2, v196
	v_lshlrev_b32_e32 v198, 4, v72
	v_lshlrev_b32_e32 v199, 6, v76
	;; [unrolled: 1-line block ×3, first 2 shown]
	s_barrier
	ds_write_b128 v198, v[44:47]
	ds_write_b128 v198, v[32:35] offset:16
	ds_write_b128 v198, v[56:59] offset:32
	;; [unrolled: 1-line block ×3, first 2 shown]
	ds_write_b128 v199, v[64:67]
	ds_write_b128 v199, v[68:71] offset:16
	ds_write_b128 v199, v[48:51] offset:32
	;; [unrolled: 1-line block ×3, first 2 shown]
	s_and_saveexec_b64 s[2:3], s[0:1]
	s_cbranch_execz .LBB0_7
; %bb.6:
	v_fma_f64 v[38:39], v[38:39], 2.0, -v[146:147]
	v_fma_f64 v[36:37], v[36:37], 2.0, -v[144:145]
	v_fma_f64 v[34:35], v[42:43], 2.0, -v[150:151]
	v_fma_f64 v[32:33], v[40:41], 2.0, -v[148:149]
	ds_write_b128 v197, v[144:147] offset:32
	ds_write_b128 v197, v[36:39]
	ds_write_b128 v197, v[32:35] offset:16
	ds_write_b128 v197, v[148:151] offset:48
.LBB0_7:
	s_or_b64 exec, exec, s[2:3]
	v_mov_b32_e32 v69, s5
	v_and_b32_e32 v143, 3, v196
	s_movk_i32 s16, 0x90
	v_mov_b32_e32 v68, s4
	v_mad_u64_u32 v[70:71], s[2:3], v143, s16, v[68:69]
	s_waitcnt lgkmcnt(0)
	s_barrier
	global_load_dwordx4 v[48:51], v[70:71], off
	global_load_dwordx4 v[40:43], v[70:71], off offset:16
	global_load_dwordx4 v[36:39], v[70:71], off offset:32
	;; [unrolled: 1-line block ×8, first 2 shown]
	ds_read_b128 v[70:73], v193 offset:3840
	ds_read_b128 v[77:80], v193 offset:7680
	;; [unrolled: 1-line block ×8, first 2 shown]
	ds_read_b128 v[105:108], v193
	ds_read_b128 v[109:112], v193 offset:34560
	s_mov_b32 s2, 0x134454ff
	s_mov_b32 s3, 0x3fee6f0e
	;; [unrolled: 1-line block ×12, first 2 shown]
	s_movk_i32 s26, 0xcd
	s_waitcnt vmcnt(0) lgkmcnt(0)
	s_barrier
	v_mul_f64 v[74:75], v[72:73], v[50:51]
	v_mul_f64 v[115:116], v[79:80], v[42:43]
	;; [unrolled: 1-line block ×17, first 2 shown]
	v_fma_f64 v[70:71], v[70:71], v[48:49], -v[74:75]
	v_fma_f64 v[74:75], v[77:78], v[40:41], -v[115:116]
	v_fma_f64 v[77:78], v[79:80], v[40:41], v[117:118]
	v_fma_f64 v[79:80], v[81:82], v[36:37], -v[119:120]
	v_fma_f64 v[81:82], v[83:84], v[36:37], v[121:122]
	;; [unrolled: 2-line block ×5, first 2 shown]
	v_fma_f64 v[101:102], v[101:102], v[56:57], -v[139:140]
	v_mul_f64 v[137:138], v[97:98], v[46:47]
	v_fma_f64 v[72:73], v[72:73], v[48:49], v[113:114]
	v_fma_f64 v[95:96], v[103:104], v[56:57], v[141:142]
	v_fma_f64 v[97:98], v[97:98], v[44:45], -v[135:136]
	v_fma_f64 v[103:104], v[109:110], v[64:65], -v[152:153]
	v_fma_f64 v[109:110], v[111:112], v[64:65], v[154:155]
	v_add_f64 v[111:112], v[105:106], v[74:75]
	v_add_f64 v[113:114], v[83:84], v[91:92]
	v_add_f64 v[119:120], v[74:75], -v[83:84]
	v_add_f64 v[121:122], v[101:102], -v[91:92]
	v_add_f64 v[123:124], v[74:75], v[101:102]
	v_add_f64 v[129:130], v[107:108], v[77:78]
	;; [unrolled: 1-line block ×3, first 2 shown]
	v_add_f64 v[115:116], v[77:78], -v[95:96]
	v_add_f64 v[117:118], v[85:86], -v[93:94]
	;; [unrolled: 1-line block ×7, first 2 shown]
	v_add_f64 v[139:140], v[77:78], v[95:96]
	v_add_f64 v[77:78], v[85:86], -v[77:78]
	v_add_f64 v[154:155], v[87:88], v[97:98]
	v_add_f64 v[83:84], v[111:112], v[83:84]
	v_fma_f64 v[111:112], v[113:114], -0.5, v[105:106]
	v_add_f64 v[113:114], v[119:120], v[121:122]
	v_fma_f64 v[105:106], v[123:124], -0.5, v[105:106]
	;; [unrolled: 2-line block ×3, first 2 shown]
	v_fma_f64 v[99:100], v[99:100], v[44:45], v[137:138]
	v_add_f64 v[137:138], v[95:96], -v[93:94]
	v_add_f64 v[141:142], v[93:94], -v[95:96]
	v_add_f64 v[152:153], v[70:71], v[79:80]
	v_add_f64 v[156:157], v[81:82], -v[109:110]
	v_add_f64 v[119:120], v[125:126], v[127:128]
	v_fma_f64 v[107:108], v[139:140], -0.5, v[107:108]
	v_fma_f64 v[127:128], v[154:155], -0.5, v[70:71]
	v_add_f64 v[83:84], v[83:84], v[91:92]
	v_fma_f64 v[91:92], v[115:116], s[2:3], v[111:112]
	v_fma_f64 v[111:112], v[115:116], s[20:21], v[111:112]
	;; [unrolled: 1-line block ×4, first 2 shown]
	v_add_f64 v[85:86], v[85:86], v[93:94]
	v_fma_f64 v[93:94], v[74:75], s[20:21], v[121:122]
	v_fma_f64 v[121:122], v[74:75], s[2:3], v[121:122]
	v_add_f64 v[158:159], v[89:90], -v[99:100]
	v_add_f64 v[160:161], v[79:80], -v[87:88]
	;; [unrolled: 1-line block ×3, first 2 shown]
	v_add_f64 v[123:124], v[135:136], v[137:138]
	v_add_f64 v[125:126], v[152:153], v[87:88]
	v_fma_f64 v[131:132], v[133:134], s[2:3], v[107:108]
	v_fma_f64 v[107:108], v[133:134], s[20:21], v[107:108]
	;; [unrolled: 1-line block ×3, first 2 shown]
	v_add_f64 v[101:102], v[83:84], v[101:102]
	v_fma_f64 v[83:84], v[117:118], s[14:15], v[91:92]
	v_fma_f64 v[91:92], v[117:118], s[22:23], v[111:112]
	;; [unrolled: 1-line block ×5, first 2 shown]
	v_add_f64 v[95:96], v[85:86], v[95:96]
	v_fma_f64 v[85:86], v[133:134], s[14:15], v[121:122]
	v_fma_f64 v[115:116], v[74:75], s[22:23], v[131:132]
	;; [unrolled: 1-line block ×7, first 2 shown]
	v_add_f64 v[77:78], v[77:78], v[141:142]
	v_fma_f64 v[121:122], v[123:124], s[18:19], v[85:86]
	v_fma_f64 v[74:75], v[74:75], s[14:15], v[107:108]
	v_add_f64 v[83:84], v[125:126], v[97:98]
	v_fma_f64 v[85:86], v[158:159], s[14:15], v[135:136]
	v_add_f64 v[91:92], v[160:161], v[162:163]
	v_add_f64 v[93:94], v[89:90], v[99:100]
	;; [unrolled: 1-line block ×3, first 2 shown]
	v_fma_f64 v[107:108], v[77:78], s[18:19], v[115:116]
	v_fma_f64 v[115:116], v[156:157], s[20:21], v[127:128]
	;; [unrolled: 1-line block ×3, first 2 shown]
	v_add_f64 v[125:126], v[83:84], v[103:104]
	v_add_f64 v[77:78], v[81:82], v[109:110]
	v_fma_f64 v[83:84], v[91:92], s[18:19], v[85:86]
	v_fma_f64 v[85:86], v[93:94], -0.5, v[72:73]
	v_add_f64 v[93:94], v[79:80], -v[103:104]
	v_fma_f64 v[70:71], v[164:165], -0.5, v[70:71]
	v_add_f64 v[127:128], v[72:73], v[81:82]
	v_add_f64 v[129:130], v[87:88], -v[97:98]
	v_fma_f64 v[115:116], v[158:159], s[22:23], v[115:116]
	v_fma_f64 v[72:73], v[77:78], -0.5, v[72:73]
	v_add_f64 v[77:78], v[87:88], -v[79:80]
	v_add_f64 v[79:80], v[97:98], -v[103:104]
	v_fma_f64 v[87:88], v[93:94], s[20:21], v[85:86]
	v_add_f64 v[97:98], v[81:82], -v[89:90]
	v_add_f64 v[103:104], v[109:110], -v[99:100]
	v_fma_f64 v[123:124], v[158:159], s[20:21], v[70:71]
	v_fma_f64 v[70:71], v[158:159], s[2:3], v[70:71]
	;; [unrolled: 1-line block ×3, first 2 shown]
	v_add_f64 v[127:128], v[127:128], v[89:90]
	v_fma_f64 v[131:132], v[129:130], s[2:3], v[72:73]
	v_fma_f64 v[87:88], v[129:130], s[22:23], v[87:88]
	v_add_f64 v[81:82], v[89:90], -v[81:82]
	v_add_f64 v[97:98], v[97:98], v[103:104]
	v_add_f64 v[89:90], v[99:100], -v[109:110]
	v_fma_f64 v[72:73], v[129:130], s[20:21], v[72:73]
	v_fma_f64 v[123:124], v[156:157], s[14:15], v[123:124]
	v_add_f64 v[77:78], v[77:78], v[79:80]
	v_fma_f64 v[70:71], v[156:157], s[22:23], v[70:71]
	v_fma_f64 v[85:86], v[129:130], s[14:15], v[85:86]
	v_fma_f64 v[79:80], v[93:94], s[22:23], v[131:132]
	v_fma_f64 v[87:88], v[97:98], s[18:19], v[87:88]
	v_add_f64 v[81:82], v[81:82], v[89:90]
	v_fma_f64 v[72:73], v[93:94], s[14:15], v[72:73]
	v_add_f64 v[89:90], v[127:128], v[99:100]
	v_fma_f64 v[93:94], v[77:78], s[18:19], v[123:124]
	v_fma_f64 v[99:100], v[77:78], s[18:19], v[70:71]
	;; [unrolled: 1-line block ×4, first 2 shown]
	v_mul_f64 v[85:86], v[87:88], s[14:15]
	v_fma_f64 v[79:80], v[81:82], s[18:19], v[79:80]
	v_fma_f64 v[72:73], v[81:82], s[18:19], v[72:73]
	v_add_f64 v[103:104], v[89:90], v[109:110]
	v_add_f64 v[70:71], v[101:102], v[125:126]
	v_mul_f64 v[89:90], v[99:100], s[18:19]
	v_mul_f64 v[123:124], v[77:78], s[24:25]
	;; [unrolled: 1-line block ×3, first 2 shown]
	v_fma_f64 v[109:110], v[83:84], s[24:25], v[85:86]
	v_mul_f64 v[83:84], v[83:84], s[22:23]
	v_mul_f64 v[81:82], v[79:80], s[2:3]
	;; [unrolled: 1-line block ×4, first 2 shown]
	v_fma_f64 v[129:130], v[72:73], s[2:3], -v[89:90]
	v_fma_f64 v[123:124], v[91:92], s[22:23], -v[123:124]
	;; [unrolled: 1-line block ×3, first 2 shown]
	v_add_f64 v[72:73], v[95:96], v[103:104]
	v_fma_f64 v[133:134], v[87:88], s[24:25], v[83:84]
	v_fma_f64 v[127:128], v[93:94], s[18:19], v[81:82]
	;; [unrolled: 1-line block ×3, first 2 shown]
	v_fma_f64 v[115:116], v[99:100], s[20:21], -v[115:116]
	v_add_f64 v[77:78], v[117:118], v[109:110]
	v_add_f64 v[85:86], v[105:106], v[129:130]
	;; [unrolled: 1-line block ×8, first 2 shown]
	v_add_f64 v[95:96], v[95:96], -v[103:104]
	v_add_f64 v[103:104], v[107:108], -v[135:136]
	;; [unrolled: 1-line block ×3, first 2 shown]
	v_lshrrev_b32_e32 v74, 2, v196
	v_add_f64 v[93:94], v[101:102], -v[125:126]
	v_mul_u32_u24_e32 v74, 40, v74
	v_add_f64 v[97:98], v[117:118], -v[109:110]
	v_add_f64 v[99:100], v[119:120], -v[133:134]
	v_or_b32_e32 v74, v74, v143
	v_add_f64 v[101:102], v[111:112], -v[127:128]
	v_lshlrev_b32_e32 v200, 4, v74
	v_add_f64 v[105:106], v[105:106], -v[129:130]
	v_add_f64 v[109:110], v[113:114], -v[131:132]
	;; [unrolled: 1-line block ×3, first 2 shown]
	ds_write_b128 v200, v[70:73]
	ds_write_b128 v200, v[77:80] offset:64
	ds_write_b128 v200, v[81:84] offset:128
	ds_write_b128 v200, v[85:88] offset:192
	ds_write_b128 v200, v[89:92] offset:256
	ds_write_b128 v200, v[93:96] offset:320
	ds_write_b128 v200, v[97:100] offset:384
	ds_write_b128 v200, v[101:104] offset:448
	ds_write_b128 v200, v[105:108] offset:512
	ds_write_b128 v200, v[109:112] offset:576
	v_mul_lo_u16_sdwa v70, v196, s26 dst_sel:DWORD dst_unused:UNUSED_PAD src0_sel:BYTE_0 src1_sel:DWORD
	v_lshrrev_b16_e32 v83, 13, v70
	v_mul_lo_u16_e32 v70, 40, v83
	v_sub_u16_e32 v70, v196, v70
	v_and_b32_e32 v180, 0xff, v70
	v_mad_u64_u32 v[77:78], s[26:27], v180, s16, v[68:69]
	s_waitcnt lgkmcnt(0)
	s_barrier
	global_load_dwordx4 v[96:99], v[77:78], off offset:576
	global_load_dwordx4 v[84:87], v[77:78], off offset:592
	;; [unrolled: 1-line block ×9, first 2 shown]
	ds_read_b128 v[77:80], v193 offset:3840
	ds_read_b128 v[88:91], v193 offset:7680
	;; [unrolled: 1-line block ×8, first 2 shown]
	ds_read_b128 v[140:143], v193
	ds_read_b128 v[152:155], v193 offset:34560
	s_waitcnt vmcnt(0) lgkmcnt(0)
	s_barrier
	v_mul_f64 v[81:82], v[79:80], v[98:99]
	v_mul_f64 v[156:157], v[77:78], v[98:99]
	v_mul_f64 v[158:159], v[88:89], v[86:87]
	v_mul_f64 v[160:161], v[118:119], v[74:75]
	v_mul_f64 v[162:163], v[122:123], v[70:71]
	v_mul_f64 v[164:165], v[130:131], v[94:95]
	v_mul_f64 v[166:167], v[120:121], v[70:71]
	v_fma_f64 v[77:78], v[77:78], v[96:97], -v[81:82]
	v_mul_f64 v[81:82], v[90:91], v[86:87]
	v_fma_f64 v[79:80], v[79:80], v[96:97], v[156:157]
	v_mul_f64 v[156:157], v[116:117], v[74:75]
	v_fma_f64 v[122:123], v[122:123], v[68:69], v[166:167]
	v_fma_f64 v[81:82], v[88:89], v[84:85], -v[81:82]
	v_fma_f64 v[88:89], v[90:91], v[84:85], v[158:159]
	v_fma_f64 v[90:91], v[116:117], v[72:73], -v[160:161]
	v_fma_f64 v[116:117], v[120:121], v[68:69], -v[162:163]
	;; [unrolled: 1-line block ×3, first 2 shown]
	v_mul_f64 v[158:159], v[136:137], v[102:103]
	v_mul_f64 v[162:163], v[138:139], v[102:103]
	v_fma_f64 v[118:119], v[118:119], v[72:73], v[156:157]
	v_mul_f64 v[156:157], v[126:127], v[110:111]
	v_mul_f64 v[160:161], v[124:125], v[110:111]
	v_add_f64 v[164:165], v[140:141], v[81:82]
	v_mul_f64 v[128:129], v[128:129], v[94:95]
	v_add_f64 v[166:167], v[116:117], v[120:121]
	v_fma_f64 v[138:139], v[138:139], v[100:101], v[158:159]
	v_mul_f64 v[158:159], v[134:135], v[106:107]
	v_fma_f64 v[136:137], v[136:137], v[100:101], -v[162:163]
	v_fma_f64 v[124:125], v[124:125], v[108:109], -v[156:157]
	v_fma_f64 v[126:127], v[126:127], v[108:109], v[160:161]
	v_add_f64 v[156:157], v[164:165], v[116:117]
	v_fma_f64 v[128:129], v[130:131], v[92:93], v[128:129]
	v_fma_f64 v[160:161], v[166:167], -0.5, v[140:141]
	v_add_f64 v[162:163], v[88:89], -v[138:139]
	v_fma_f64 v[130:131], v[132:133], v[104:105], -v[158:159]
	v_mul_f64 v[132:133], v[132:133], v[106:107]
	v_add_f64 v[164:165], v[81:82], v[136:137]
	v_mul_f64 v[158:159], v[154:155], v[114:115]
	v_mul_f64 v[166:167], v[152:153], v[114:115]
	v_add_f64 v[156:157], v[156:157], v[120:121]
	v_add_f64 v[170:171], v[122:123], -v[128:129]
	v_fma_f64 v[168:169], v[162:163], s[2:3], v[160:161]
	v_add_f64 v[172:173], v[81:82], -v[116:117]
	v_add_f64 v[174:175], v[136:137], -v[120:121]
	v_fma_f64 v[132:133], v[134:135], v[104:105], v[132:133]
	v_fma_f64 v[134:135], v[164:165], -0.5, v[140:141]
	v_fma_f64 v[140:141], v[152:153], v[112:113], -v[158:159]
	v_fma_f64 v[152:153], v[154:155], v[112:113], v[166:167]
	v_add_f64 v[154:155], v[156:157], v[136:137]
	v_fma_f64 v[156:157], v[170:171], s[14:15], v[168:169]
	v_add_f64 v[158:159], v[122:123], v[128:129]
	v_add_f64 v[164:165], v[172:173], v[174:175]
	v_fma_f64 v[160:161], v[162:163], s[20:21], v[160:161]
	v_fma_f64 v[166:167], v[170:171], s[20:21], v[134:135]
	v_add_f64 v[168:169], v[116:117], -v[81:82]
	v_add_f64 v[172:173], v[120:121], -v[136:137]
	v_fma_f64 v[134:135], v[170:171], s[2:3], v[134:135]
	v_add_f64 v[174:175], v[142:143], v[88:89]
	v_fma_f64 v[158:159], v[158:159], -0.5, v[142:143]
	v_add_f64 v[81:82], v[81:82], -v[136:137]
	v_fma_f64 v[136:137], v[164:165], s[18:19], v[156:157]
	v_fma_f64 v[156:157], v[170:171], s[22:23], v[160:161]
	;; [unrolled: 1-line block ×3, first 2 shown]
	v_add_f64 v[166:167], v[168:169], v[172:173]
	v_add_f64 v[168:169], v[88:89], v[138:139]
	v_fma_f64 v[134:135], v[162:163], s[22:23], v[134:135]
	v_add_f64 v[162:163], v[174:175], v[122:123]
	v_fma_f64 v[170:171], v[81:82], s[20:21], v[158:159]
	v_add_f64 v[116:117], v[116:117], -v[120:121]
	v_add_f64 v[120:121], v[88:89], -v[122:123]
	;; [unrolled: 1-line block ×3, first 2 shown]
	v_fma_f64 v[158:159], v[81:82], s[2:3], v[158:159]
	v_fma_f64 v[142:143], v[168:169], -0.5, v[142:143]
	v_add_f64 v[88:89], v[122:123], -v[88:89]
	v_add_f64 v[122:123], v[77:78], v[90:91]
	v_fma_f64 v[160:161], v[166:167], s[18:19], v[160:161]
	v_fma_f64 v[134:135], v[166:167], s[18:19], v[134:135]
	v_add_f64 v[162:163], v[162:163], v[128:129]
	v_fma_f64 v[166:167], v[116:117], s[22:23], v[170:171]
	v_add_f64 v[120:121], v[120:121], v[172:173]
	v_fma_f64 v[168:169], v[116:117], s[2:3], v[142:143]
	v_fma_f64 v[158:159], v[116:117], s[14:15], v[158:159]
	v_fma_f64 v[116:117], v[116:117], s[20:21], v[142:143]
	v_add_f64 v[122:123], v[122:123], v[124:125]
	v_fma_f64 v[156:157], v[164:165], s[18:19], v[156:157]
	v_add_f64 v[164:165], v[124:125], v[130:131]
	v_add_f64 v[128:129], v[128:129], -v[138:139]
	v_add_f64 v[138:139], v[162:163], v[138:139]
	v_fma_f64 v[162:163], v[120:121], s[18:19], v[166:167]
	v_fma_f64 v[142:143], v[81:82], s[22:23], v[168:169]
	v_add_f64 v[168:169], v[90:91], -v[124:125]
	v_add_f64 v[172:173], v[140:141], -v[130:131]
	v_fma_f64 v[81:82], v[81:82], s[14:15], v[116:117]
	v_add_f64 v[116:117], v[122:123], v[130:131]
	v_fma_f64 v[158:159], v[120:121], s[18:19], v[158:159]
	v_add_f64 v[120:121], v[90:91], v[140:141]
	v_add_f64 v[122:123], v[126:127], v[132:133]
	v_fma_f64 v[164:165], v[164:165], -0.5, v[77:78]
	v_add_f64 v[170:171], v[118:119], -v[152:153]
	v_add_f64 v[88:89], v[88:89], v[128:129]
	v_add_f64 v[168:169], v[168:169], v[172:173]
	;; [unrolled: 1-line block ×4, first 2 shown]
	v_fma_f64 v[77:78], v[120:121], -0.5, v[77:78]
	v_fma_f64 v[120:121], v[122:123], -0.5, v[79:80]
	v_add_f64 v[122:123], v[90:91], -v[140:141]
	v_fma_f64 v[128:129], v[170:171], s[2:3], v[164:165]
	v_add_f64 v[166:167], v[126:127], -v[132:133]
	v_fma_f64 v[142:143], v[88:89], s[18:19], v[142:143]
	v_fma_f64 v[81:82], v[88:89], s[18:19], v[81:82]
	v_fma_f64 v[88:89], v[170:171], s[20:21], v[164:165]
	v_add_f64 v[90:91], v[124:125], -v[90:91]
	v_add_f64 v[140:141], v[130:131], -v[140:141]
	;; [unrolled: 1-line block ×3, first 2 shown]
	v_fma_f64 v[116:117], v[116:117], -0.5, v[79:80]
	v_fma_f64 v[164:165], v[122:123], s[20:21], v[120:121]
	v_add_f64 v[174:175], v[118:119], -v[126:127]
	v_add_f64 v[176:177], v[152:153], -v[132:133]
	v_add_f64 v[79:80], v[79:80], v[118:119]
	v_fma_f64 v[128:129], v[166:167], s[14:15], v[128:129]
	v_fma_f64 v[88:89], v[166:167], s[22:23], v[88:89]
	;; [unrolled: 1-line block ×3, first 2 shown]
	v_add_f64 v[90:91], v[90:91], v[140:141]
	v_fma_f64 v[140:141], v[124:125], s[2:3], v[116:117]
	v_add_f64 v[118:119], v[126:127], -v[118:119]
	v_add_f64 v[178:179], v[132:133], -v[152:153]
	v_fma_f64 v[77:78], v[166:167], s[2:3], v[77:78]
	v_fma_f64 v[164:165], v[124:125], s[22:23], v[164:165]
	v_add_f64 v[166:167], v[174:175], v[176:177]
	v_fma_f64 v[116:117], v[124:125], s[20:21], v[116:117]
	v_add_f64 v[79:80], v[79:80], v[126:127]
	v_fma_f64 v[120:121], v[122:123], s[2:3], v[120:121]
	v_fma_f64 v[126:127], v[122:123], s[22:23], v[140:141]
	v_add_f64 v[118:119], v[118:119], v[178:179]
	v_fma_f64 v[77:78], v[170:171], s[22:23], v[77:78]
	v_fma_f64 v[130:131], v[170:171], s[14:15], v[130:131]
	;; [unrolled: 1-line block ×4, first 2 shown]
	v_add_f64 v[79:80], v[79:80], v[132:133]
	v_fma_f64 v[120:121], v[124:125], s[14:15], v[120:121]
	v_fma_f64 v[128:129], v[168:169], s[18:19], v[128:129]
	v_fma_f64 v[122:123], v[168:169], s[18:19], v[88:89]
	v_fma_f64 v[124:125], v[118:119], s[18:19], v[126:127]
	v_fma_f64 v[126:127], v[90:91], s[18:19], v[77:78]
	v_fma_f64 v[88:89], v[90:91], s[18:19], v[130:131]
	v_mul_f64 v[90:91], v[140:141], s[14:15]
	v_fma_f64 v[116:117], v[118:119], s[18:19], v[116:117]
	v_add_f64 v[130:131], v[79:80], v[152:153]
	v_fma_f64 v[79:80], v[166:167], s[18:19], v[120:121]
	v_mul_f64 v[132:133], v[122:123], s[24:25]
	v_mul_f64 v[118:119], v[124:125], s[2:3]
	v_mul_f64 v[120:121], v[126:127], s[18:19]
	v_add_f64 v[77:78], v[154:155], v[172:173]
	v_fma_f64 v[152:153], v[128:129], s[24:25], v[90:91]
	v_mul_f64 v[90:91], v[128:129], s[22:23]
	v_mul_f64 v[128:129], v[88:89], s[20:21]
	v_mul_f64 v[164:165], v[116:117], s[18:19]
	v_mul_f64 v[166:167], v[79:80], s[24:25]
	v_fma_f64 v[168:169], v[88:89], s[18:19], v[118:119]
	v_fma_f64 v[170:171], v[116:117], s[2:3], -v[120:121]
	v_fma_f64 v[132:133], v[79:80], s[14:15], -v[132:133]
	v_add_f64 v[79:80], v[138:139], v[130:131]
	v_fma_f64 v[140:141], v[140:141], s[24:25], v[90:91]
	v_fma_f64 v[174:175], v[124:125], s[18:19], v[128:129]
	v_fma_f64 v[176:177], v[126:127], s[20:21], -v[164:165]
	v_fma_f64 v[178:179], v[122:123], s[22:23], -v[166:167]
	v_add_f64 v[88:89], v[136:137], v[152:153]
	v_add_f64 v[116:117], v[160:161], v[168:169]
	;; [unrolled: 1-line block ×8, first 2 shown]
	v_add_f64 v[128:129], v[154:155], -v[172:173]
	v_add_f64 v[130:131], v[138:139], -v[130:131]
	;; [unrolled: 1-line block ×5, first 2 shown]
	v_mul_u32_u24_e32 v81, 0x190, v83
	v_add_f64 v[164:165], v[160:161], -v[168:169]
	v_add_f64 v[166:167], v[142:143], -v[174:175]
	v_add_lshl_u32 v201, v81, v180, 4
	v_add_f64 v[160:161], v[134:135], -v[170:171]
	v_add_f64 v[168:169], v[156:157], -v[132:133]
	;; [unrolled: 1-line block ×3, first 2 shown]
	ds_write_b128 v201, v[77:80]
	ds_write_b128 v201, v[88:91] offset:640
	ds_write_b128 v201, v[116:119] offset:1280
	ds_write_b128 v201, v[120:123] offset:1920
	ds_write_b128 v201, v[124:127] offset:2560
	ds_write_b128 v201, v[128:131] offset:3200
	ds_write_b128 v201, v[152:155] offset:3840
	ds_write_b128 v201, v[164:167] offset:4480
	ds_write_b128 v201, v[160:163] offset:5120
	ds_write_b128 v201, v[168:171] offset:5760
	s_waitcnt lgkmcnt(0)
	s_barrier
	ds_read_b128 v[156:159], v193
	ds_read_b128 v[188:191], v193 offset:6400
	ds_read_b128 v[184:187], v193 offset:12800
	;; [unrolled: 1-line block ×5, first 2 shown]
	s_movk_i32 s2, 0xa0
	v_cmp_gt_u16_e64 s[2:3], s2, v196
	s_and_saveexec_b64 s[14:15], s[2:3]
	s_cbranch_execz .LBB0_9
; %bb.8:
	ds_read_b128 v[164:167], v193 offset:10240
	ds_read_b128 v[160:163], v193 offset:16640
	ds_read_b128 v[168:171], v193 offset:23040
	ds_read_b128 v[144:147], v193 offset:29440
	ds_read_b128 v[152:155], v193 offset:3840
	ds_read_b128 v[148:151], v193 offset:35840
.LBB0_9:
	s_or_b64 exec, exec, s[14:15]
	v_mov_b32_e32 v78, s5
	s_movk_i32 s14, 0x50
	v_mov_b32_e32 v77, s4
	v_mad_u64_u32 v[120:121], s[14:15], v196, s14, v[77:78]
	v_add_u32_e32 v77, 0xffffff60, v196
	v_cndmask_b32_e64 v76, v77, v76, s[2:3]
	v_mul_hi_i32_i24_e32 v77, 0x50, v76
	v_mul_i32_i24_e32 v76, 0x50, v76
	v_mov_b32_e32 v78, s5
	v_add_co_u32_e32 v76, vcc, s4, v76
	s_movk_i32 s14, 0x18c0
	v_addc_co_u32_e32 v77, vcc, v78, v77, vcc
	v_add_co_u32_e32 v122, vcc, s14, v76
	s_movk_i32 s15, 0x1000
	v_addc_co_u32_e32 v123, vcc, 0, v77, vcc
	v_add_co_u32_e32 v116, vcc, s15, v76
	v_addc_co_u32_e32 v117, vcc, 0, v77, vcc
	v_add_co_u32_e32 v132, vcc, s15, v120
	;; [unrolled: 2-line block ×3, first 2 shown]
	v_addc_co_u32_e32 v121, vcc, 0, v121, vcc
	global_load_dwordx4 v[76:79], v[116:117], off offset:2240
	global_load_dwordx4 v[80:83], v[122:123], off offset:48
	;; [unrolled: 1-line block ×4, first 2 shown]
	s_nop 0
	global_load_dwordx4 v[116:119], v[116:117], off offset:2304
	s_nop 0
	global_load_dwordx4 v[140:143], v[120:121], off offset:16
	global_load_dwordx4 v[128:131], v[120:121], off offset:32
	;; [unrolled: 1-line block ×3, first 2 shown]
	s_nop 0
	global_load_dwordx4 v[132:135], v[132:133], off offset:2304
	s_nop 0
	global_load_dwordx4 v[120:123], v[122:123], off offset:16
	s_mov_b32 s4, 0xe8584caa
	s_mov_b32 s5, 0x3febb67a
	;; [unrolled: 1-line block ×4, first 2 shown]
	s_waitcnt vmcnt(9) lgkmcnt(5)
	v_mul_f64 v[202:203], v[166:167], v[78:79]
	s_waitcnt vmcnt(3) lgkmcnt(2)
	v_mul_f64 v[226:227], v[182:183], v[130:131]
	v_mul_f64 v[228:229], v[180:181], v[130:131]
	s_waitcnt vmcnt(1) lgkmcnt(0)
	v_mul_f64 v[234:235], v[174:175], v[134:135]
	v_mul_f64 v[236:237], v[172:173], v[134:135]
	;; [unrolled: 1-line block ×10, first 2 shown]
	v_fma_f64 v[180:181], v[180:181], v[128:129], -v[226:227]
	v_fma_f64 v[182:183], v[182:183], v[128:129], v[228:229]
	v_fma_f64 v[172:173], v[172:173], v[132:133], -v[234:235]
	v_fma_f64 v[174:175], v[174:175], v[132:133], v[236:237]
	v_mul_f64 v[204:205], v[164:165], v[78:79]
	v_mul_f64 v[210:211], v[146:147], v[82:83]
	;; [unrolled: 1-line block ×4, first 2 shown]
	s_waitcnt vmcnt(0)
	v_mul_f64 v[238:239], v[162:163], v[122:123]
	v_mul_f64 v[240:241], v[160:161], v[122:123]
	v_fma_f64 v[168:169], v[168:169], v[88:89], -v[206:207]
	v_fma_f64 v[170:171], v[170:171], v[88:89], v[208:209]
	v_fma_f64 v[148:149], v[148:149], v[116:117], -v[214:215]
	v_fma_f64 v[150:151], v[150:151], v[116:117], v[216:217]
	;; [unrolled: 2-line block ×4, first 2 shown]
	v_add_f64 v[220:221], v[182:183], v[174:175]
	v_add_f64 v[222:223], v[180:181], v[172:173]
	v_mul_f64 v[212:213], v[144:145], v[82:83]
	v_fma_f64 v[164:165], v[164:165], v[76:77], -v[202:203]
	v_fma_f64 v[166:167], v[166:167], v[76:77], v[204:205]
	v_fma_f64 v[144:145], v[144:145], v[80:81], -v[210:211]
	v_fma_f64 v[176:177], v[176:177], v[136:137], -v[230:231]
	v_fma_f64 v[178:179], v[178:179], v[136:137], v[232:233]
	v_fma_f64 v[208:209], v[160:161], v[120:121], -v[238:239]
	v_fma_f64 v[210:211], v[162:163], v[120:121], v[240:241]
	v_add_f64 v[160:161], v[168:169], v[148:149]
	v_add_f64 v[162:163], v[170:171], v[150:151]
	;; [unrolled: 1-line block ×5, first 2 shown]
	v_add_f64 v[224:225], v[182:183], -v[174:175]
	v_add_f64 v[182:183], v[190:191], v[182:183]
	v_add_f64 v[180:181], v[180:181], -v[172:173]
	v_fma_f64 v[190:191], v[220:221], -0.5, v[190:191]
	v_fma_f64 v[188:189], v[222:223], -0.5, v[188:189]
	v_add_f64 v[204:205], v[184:185], v[176:177]
	v_add_f64 v[206:207], v[186:187], -v[178:179]
	v_add_f64 v[186:187], v[186:187], v[178:179]
	v_add_f64 v[184:185], v[184:185], -v[176:177]
	v_fma_f64 v[222:223], v[160:161], -0.5, v[164:165]
	v_fma_f64 v[232:233], v[162:163], -0.5, v[166:167]
	v_add_f64 v[160:161], v[202:203], v[176:177]
	v_add_f64 v[162:163], v[216:217], v[178:179]
	v_fma_f64 v[176:177], v[180:181], s[14:15], v[190:191]
	v_fma_f64 v[178:179], v[224:225], s[14:15], v[188:189]
	v_fma_f64 v[156:157], v[204:205], -0.5, v[156:157]
	v_fma_f64 v[188:189], v[224:225], s[4:5], v[188:189]
	v_fma_f64 v[180:181], v[180:181], s[4:5], v[190:191]
	v_fma_f64 v[158:159], v[186:187], -0.5, v[158:159]
	v_add_f64 v[174:175], v[182:183], v[174:175]
	v_fma_f64 v[146:147], v[146:147], v[80:81], v[212:213]
	v_mul_f64 v[182:183], v[176:177], s[4:5]
	v_mul_f64 v[186:187], v[178:179], -0.5
	v_add_f64 v[212:213], v[170:171], -v[150:151]
	v_add_f64 v[214:215], v[168:169], -v[148:149]
	v_add_f64 v[228:229], v[208:209], v[144:145]
	v_add_f64 v[172:173], v[218:219], v[172:173]
	v_mul_f64 v[190:191], v[188:189], s[14:15]
	v_mul_f64 v[202:203], v[180:181], -0.5
	v_fma_f64 v[204:205], v[206:207], s[4:5], v[156:157]
	v_fma_f64 v[156:157], v[206:207], s[14:15], v[156:157]
	v_fma_f64 v[206:207], v[188:189], 0.5, v[182:183]
	v_fma_f64 v[218:219], v[180:181], s[4:5], v[186:187]
	v_add_f64 v[226:227], v[152:153], v[208:209]
	v_add_f64 v[230:231], v[210:211], -v[146:147]
	v_add_f64 v[220:221], v[210:211], v[146:147]
	v_fma_f64 v[152:153], v[228:229], -0.5, v[152:153]
	v_fma_f64 v[216:217], v[184:185], s[14:15], v[158:159]
	v_fma_f64 v[158:159], v[184:185], s[4:5], v[158:159]
	v_fma_f64 v[224:225], v[176:177], 0.5, v[190:191]
	v_fma_f64 v[228:229], v[178:179], s[14:15], v[202:203]
	v_add_f64 v[176:177], v[160:161], v[172:173]
	v_add_f64 v[178:179], v[162:163], v[174:175]
	v_add_f64 v[180:181], v[160:161], -v[172:173]
	v_add_f64 v[182:183], v[162:163], -v[174:175]
	v_add_f64 v[184:185], v[204:205], v[206:207]
	v_add_f64 v[188:189], v[156:157], v[218:219]
	v_add_f64 v[202:203], v[204:205], -v[206:207]
	v_add_f64 v[206:207], v[156:157], -v[218:219]
	v_fma_f64 v[156:157], v[212:213], s[14:15], v[222:223]
	v_fma_f64 v[172:173], v[214:215], s[4:5], v[232:233]
	;; [unrolled: 1-line block ×3, first 2 shown]
	v_add_f64 v[210:211], v[154:155], v[210:211]
	v_fma_f64 v[212:213], v[212:213], s[4:5], v[222:223]
	v_add_f64 v[186:187], v[216:217], v[224:225]
	v_add_f64 v[204:205], v[216:217], -v[224:225]
	v_add_f64 v[160:161], v[226:227], v[144:145]
	v_fma_f64 v[154:155], v[220:221], -0.5, v[154:155]
	v_add_f64 v[144:145], v[208:209], -v[144:145]
	v_mul_f64 v[208:209], v[156:157], -0.5
	v_mul_f64 v[214:215], v[172:173], -0.5
	v_add_f64 v[168:169], v[164:165], v[168:169]
	v_mul_f64 v[216:217], v[174:175], s[4:5]
	v_add_f64 v[164:165], v[210:211], v[146:147]
	v_add_f64 v[146:147], v[166:167], v[170:171]
	v_mul_f64 v[210:211], v[212:213], s[14:15]
	v_fma_f64 v[162:163], v[230:231], s[4:5], v[152:153]
	v_fma_f64 v[152:153], v[230:231], s[14:15], v[152:153]
	;; [unrolled: 1-line block ×5, first 2 shown]
	v_add_f64 v[166:167], v[168:169], v[148:149]
	v_fma_f64 v[168:169], v[212:213], 0.5, v[216:217]
	v_fma_f64 v[172:173], v[144:145], s[14:15], v[154:155]
	v_add_f64 v[170:171], v[146:147], v[150:151]
	v_fma_f64 v[174:175], v[174:175], 0.5, v[210:211]
	v_add_f64 v[190:191], v[158:159], v[228:229]
	v_add_f64 v[208:209], v[158:159], -v[228:229]
	v_add_f64 v[148:149], v[152:153], v[220:221]
	v_add_f64 v[150:151], v[218:219], v[214:215]
	v_add_f64 v[144:145], v[160:161], -v[166:167]
	v_add_f64 v[156:157], v[162:163], -v[168:169]
	;; [unrolled: 1-line block ×6, first 2 shown]
	ds_write_b128 v193, v[176:179]
	ds_write_b128 v193, v[184:187] offset:6400
	ds_write_b128 v193, v[188:191] offset:12800
	;; [unrolled: 1-line block ×5, first 2 shown]
	s_and_saveexec_b64 s[4:5], s[2:3]
	s_cbranch_execz .LBB0_11
; %bb.10:
	v_add_f64 v[172:173], v[172:173], v[174:175]
	v_add_f64 v[176:177], v[164:165], v[170:171]
	;; [unrolled: 1-line block ×4, first 2 shown]
	ds_write_b128 v193, v[148:151] offset:16640
	ds_write_b128 v193, v[144:147] offset:23040
	;; [unrolled: 1-line block ×6, first 2 shown]
.LBB0_11:
	s_or_b64 exec, exec, s[4:5]
	v_mov_b32_e32 v160, s17
	v_addc_co_u32_e64 v190, vcc, 0, v160, s[6:7]
	s_mov_b32 s4, 0x9600
	v_add_co_u32_e32 v160, vcc, s4, v194
	s_mov_b32 s6, 0x9000
	s_mov_b64 s[4:5], vcc
	v_add_co_u32_e32 v186, vcc, s6, v194
	v_addc_co_u32_e32 v187, vcc, 0, v190, vcc
	s_mov_b32 s6, 0xb000
	v_add_co_u32_e32 v161, vcc, s6, v194
	v_addc_co_u32_e32 v162, vcc, 0, v190, vcc
	s_mov_b32 s6, 0xe000
	;; [unrolled: 3-line block ×6, first 2 shown]
	s_waitcnt lgkmcnt(0)
	s_barrier
	global_load_dwordx4 v[162:165], v[161:162], off offset:2944
	s_nop 0
	global_load_dwordx4 v[166:169], v[166:167], off offset:256
	v_add_co_u32_e32 v182, vcc, s6, v194
	v_addc_co_u32_e32 v183, vcc, 0, v190, vcc
	global_load_dwordx4 v[170:173], v[170:171], off offset:1664
	s_nop 0
	global_load_dwordx4 v[174:177], v[174:175], off offset:2688
	v_addc_co_u32_e64 v161, vcc, 0, v190, s[4:5]
	global_load_dwordx4 v[178:181], v[178:179], off
	s_nop 0
	global_load_dwordx4 v[182:185], v[182:183], off offset:1408
	s_nop 0
	global_load_dwordx4 v[186:189], v[186:187], off offset:1536
	s_nop 0
	global_load_dwordx4 v[202:205], v[160:161], off offset:3840
	ds_read_b128 v[206:209], v193
	ds_read_b128 v[210:213], v193 offset:3840
	ds_read_b128 v[214:217], v193 offset:9600
	ds_read_b128 v[218:221], v193 offset:13440
	ds_read_b128 v[222:225], v193 offset:19200
	ds_read_b128 v[226:229], v193 offset:23040
	ds_read_b128 v[230:233], v193 offset:28800
	ds_read_b128 v[234:237], v193 offset:32640
	s_waitcnt vmcnt(7) lgkmcnt(5)
	v_mul_f64 v[190:191], v[216:217], v[164:165]
	v_mul_f64 v[164:165], v[214:215], v[164:165]
	s_waitcnt vmcnt(6) lgkmcnt(3)
	v_mul_f64 v[238:239], v[224:225], v[168:169]
	v_mul_f64 v[168:169], v[222:223], v[168:169]
	;; [unrolled: 3-line block ×3, first 2 shown]
	s_waitcnt vmcnt(4)
	v_mul_f64 v[242:243], v[220:221], v[176:177]
	v_mul_f64 v[176:177], v[218:219], v[176:177]
	s_waitcnt vmcnt(2) lgkmcnt(0)
	v_mul_f64 v[246:247], v[236:237], v[184:185]
	v_mul_f64 v[248:249], v[234:235], v[184:185]
	s_waitcnt vmcnt(1)
	v_mul_f64 v[184:185], v[208:209], v[188:189]
	v_mul_f64 v[250:251], v[206:207], v[188:189]
	s_waitcnt vmcnt(0)
	v_mul_f64 v[252:253], v[212:213], v[204:205]
	v_mul_f64 v[254:255], v[210:211], v[204:205]
	;; [unrolled: 1-line block ×4, first 2 shown]
	v_fma_f64 v[188:189], v[214:215], v[162:163], -v[190:191]
	v_fma_f64 v[190:191], v[216:217], v[162:163], v[164:165]
	v_fma_f64 v[162:163], v[222:223], v[166:167], -v[238:239]
	v_fma_f64 v[164:165], v[224:225], v[166:167], v[168:169]
	;; [unrolled: 2-line block ×8, first 2 shown]
	ds_write_b128 v193, v[188:191] offset:9600
	ds_write_b128 v193, v[162:165] offset:19200
	;; [unrolled: 1-line block ×3, first 2 shown]
	ds_write_b128 v193, v[184:187]
	ds_write_b128 v193, v[204:207] offset:3840
	ds_write_b128 v193, v[170:173] offset:13440
	;; [unrolled: 1-line block ×4, first 2 shown]
	s_and_saveexec_b64 s[4:5], s[0:1]
	s_cbranch_execz .LBB0_13
; %bb.12:
	v_add_co_u32_e32 v162, vcc, 0x1000, v160
	v_addc_co_u32_e32 v163, vcc, 0, v161, vcc
	s_movk_i32 s6, 0x4000
	v_add_co_u32_e32 v166, vcc, s6, v160
	v_addc_co_u32_e32 v167, vcc, 0, v161, vcc
	s_movk_i32 s6, 0x6000
	v_add_co_u32_e32 v170, vcc, s6, v160
	v_addc_co_u32_e32 v171, vcc, 0, v161, vcc
	s_mov_b32 s6, 0x8000
	global_load_dwordx4 v[162:165], v[162:163], off offset:3584
	s_nop 0
	global_load_dwordx4 v[166:169], v[166:167], off offset:896
	v_add_co_u32_e32 v160, vcc, s6, v160
	global_load_dwordx4 v[170:173], v[170:171], off offset:2304
	v_addc_co_u32_e32 v161, vcc, 0, v161, vcc
	global_load_dwordx4 v[174:177], v[160:161], off offset:3712
	ds_read_b128 v[178:181], v193 offset:7680
	ds_read_b128 v[182:185], v193 offset:17280
	ds_read_b128 v[186:189], v193 offset:26880
	ds_read_b128 v[202:205], v193 offset:36480
	s_waitcnt vmcnt(3) lgkmcnt(3)
	v_mul_f64 v[160:161], v[180:181], v[164:165]
	v_mul_f64 v[164:165], v[178:179], v[164:165]
	s_waitcnt vmcnt(2) lgkmcnt(2)
	v_mul_f64 v[190:191], v[184:185], v[168:169]
	v_mul_f64 v[168:169], v[182:183], v[168:169]
	s_waitcnt vmcnt(1) lgkmcnt(1)
	v_mul_f64 v[206:207], v[188:189], v[172:173]
	v_mul_f64 v[172:173], v[186:187], v[172:173]
	s_waitcnt vmcnt(0) lgkmcnt(0)
	v_mul_f64 v[208:209], v[204:205], v[176:177]
	v_mul_f64 v[176:177], v[202:203], v[176:177]
	v_fma_f64 v[160:161], v[178:179], v[162:163], -v[160:161]
	v_fma_f64 v[162:163], v[180:181], v[162:163], v[164:165]
	v_fma_f64 v[164:165], v[182:183], v[166:167], -v[190:191]
	v_fma_f64 v[166:167], v[184:185], v[166:167], v[168:169]
	v_fma_f64 v[168:169], v[186:187], v[170:171], -v[206:207]
	v_fma_f64 v[170:171], v[188:189], v[170:171], v[172:173]
	v_fma_f64 v[172:173], v[202:203], v[174:175], -v[208:209]
	v_fma_f64 v[174:175], v[204:205], v[174:175], v[176:177]
	ds_write_b128 v193, v[160:163] offset:7680
	ds_write_b128 v193, v[164:167] offset:17280
	;; [unrolled: 1-line block ×4, first 2 shown]
.LBB0_13:
	s_or_b64 exec, exec, s[4:5]
	s_waitcnt lgkmcnt(0)
	s_barrier
	ds_read_b128 v[168:171], v193
	ds_read_b128 v[160:163], v193 offset:3840
	ds_read_b128 v[172:175], v193 offset:9600
	;; [unrolled: 1-line block ×7, first 2 shown]
	s_and_saveexec_b64 s[4:5], s[0:1]
	s_cbranch_execz .LBB0_15
; %bb.14:
	ds_read_b128 v[144:147], v193 offset:17280
	ds_read_b128 v[156:159], v193 offset:26880
	;; [unrolled: 1-line block ×4, first 2 shown]
.LBB0_15:
	s_or_b64 exec, exec, s[4:5]
	s_waitcnt lgkmcnt(3)
	v_add_f64 v[190:191], v[170:171], -v[190:191]
	s_waitcnt lgkmcnt(1)
	v_add_f64 v[186:187], v[174:175], -v[186:187]
	v_add_f64 v[188:189], v[168:169], -v[188:189]
	;; [unrolled: 1-line block ×4, first 2 shown]
	s_waitcnt lgkmcnt(0)
	v_add_f64 v[182:183], v[164:165], -v[176:177]
	v_add_f64 v[176:177], v[166:167], -v[178:179]
	v_add_f64 v[202:203], v[160:161], -v[180:181]
	v_fma_f64 v[204:205], v[170:171], 2.0, -v[190:191]
	v_fma_f64 v[170:171], v[174:175], 2.0, -v[186:187]
	;; [unrolled: 1-line block ×4, first 2 shown]
	v_add_f64 v[156:157], v[148:149], -v[156:157]
	v_add_f64 v[158:159], v[150:151], -v[158:159]
	v_fma_f64 v[174:175], v[166:167], 2.0, -v[176:177]
	v_add_f64 v[212:213], v[144:145], -v[152:153]
	v_fma_f64 v[208:209], v[160:161], 2.0, -v[202:203]
	;; [unrolled: 2-line block ×3, first 2 shown]
	v_fma_f64 v[172:173], v[164:165], 2.0, -v[182:183]
	v_add_f64 v[168:169], v[180:181], -v[168:169]
	v_fma_f64 v[152:153], v[148:149], 2.0, -v[156:157]
	v_add_f64 v[160:161], v[188:189], v[186:187]
	v_fma_f64 v[144:145], v[144:145], 2.0, -v[212:213]
	v_add_f64 v[162:163], v[190:191], -v[184:185]
	v_fma_f64 v[166:167], v[204:205], 2.0, -v[170:171]
	v_add_f64 v[204:205], v[146:147], -v[154:155]
	;; [unrolled: 2-line block ×3, first 2 shown]
	v_add_f64 v[174:175], v[210:211], -v[174:175]
	v_add_f64 v[176:177], v[202:203], v[176:177]
	v_add_f64 v[178:179], v[206:207], -v[182:183]
	v_fma_f64 v[164:165], v[180:181], 2.0, -v[168:169]
	v_add_f64 v[144:145], v[152:153], -v[144:145]
	v_fma_f64 v[146:147], v[146:147], 2.0, -v[204:205]
	v_add_f64 v[148:149], v[156:157], v[204:205]
	v_add_f64 v[150:151], v[158:159], -v[212:213]
	v_fma_f64 v[180:181], v[188:189], 2.0, -v[160:161]
	v_fma_f64 v[182:183], v[190:191], 2.0, -v[162:163]
	;; [unrolled: 1-line block ×5, first 2 shown]
	v_add_f64 v[146:147], v[154:155], -v[146:147]
	v_fma_f64 v[190:191], v[206:207], 2.0, -v[178:179]
	s_barrier
	ds_write_b128 v198, v[164:167]
	ds_write_b128 v198, v[180:183] offset:16
	ds_write_b128 v198, v[168:171] offset:32
	;; [unrolled: 1-line block ×3, first 2 shown]
	ds_write_b128 v199, v[184:187]
	ds_write_b128 v199, v[188:191] offset:16
	ds_write_b128 v199, v[172:175] offset:32
	;; [unrolled: 1-line block ×3, first 2 shown]
	s_and_saveexec_b64 s[4:5], s[0:1]
	s_cbranch_execz .LBB0_17
; %bb.16:
	v_fma_f64 v[154:155], v[154:155], 2.0, -v[146:147]
	v_fma_f64 v[152:153], v[152:153], 2.0, -v[144:145]
	;; [unrolled: 1-line block ×4, first 2 shown]
	ds_write_b128 v197, v[144:147] offset:32
	ds_write_b128 v197, v[152:155]
	ds_write_b128 v197, v[156:159] offset:16
	ds_write_b128 v197, v[148:151] offset:48
.LBB0_17:
	s_or_b64 exec, exec, s[4:5]
	s_waitcnt lgkmcnt(0)
	s_barrier
	ds_read_b128 v[152:155], v193 offset:3840
	ds_read_b128 v[156:159], v193 offset:7680
	;; [unrolled: 1-line block ×6, first 2 shown]
	s_waitcnt lgkmcnt(5)
	v_mul_f64 v[197:198], v[50:51], v[154:155]
	v_mul_f64 v[50:51], v[50:51], v[152:153]
	s_waitcnt lgkmcnt(4)
	v_mul_f64 v[202:203], v[42:43], v[158:159]
	v_mul_f64 v[42:43], v[42:43], v[156:157]
	ds_read_b128 v[176:179], v193 offset:26880
	ds_read_b128 v[180:183], v193 offset:30720
	ds_read_b128 v[184:187], v193
	ds_read_b128 v[188:191], v193 offset:34560
	s_mov_b32 s4, 0x134454ff
	s_mov_b32 s5, 0xbfee6f0e
	v_fma_f64 v[152:153], v[48:49], v[152:153], v[197:198]
	v_fma_f64 v[48:49], v[48:49], v[154:155], -v[50:51]
	s_waitcnt lgkmcnt(7)
	v_mul_f64 v[50:51], v[38:39], v[162:163]
	v_mul_f64 v[38:39], v[38:39], v[160:161]
	v_fma_f64 v[154:155], v[40:41], v[156:157], v[202:203]
	s_waitcnt lgkmcnt(6)
	v_mul_f64 v[156:157], v[34:35], v[166:167]
	v_fma_f64 v[40:41], v[40:41], v[158:159], -v[42:43]
	v_mul_f64 v[34:35], v[34:35], v[164:165]
	s_waitcnt lgkmcnt(5)
	v_mul_f64 v[42:43], v[62:63], v[170:171]
	s_waitcnt lgkmcnt(4)
	v_mul_f64 v[158:159], v[54:55], v[174:175]
	v_fma_f64 v[50:51], v[36:37], v[160:161], v[50:51]
	v_fma_f64 v[36:37], v[36:37], v[162:163], -v[38:39]
	v_mul_f64 v[38:39], v[62:63], v[168:169]
	v_fma_f64 v[62:63], v[32:33], v[164:165], v[156:157]
	s_waitcnt lgkmcnt(1)
	v_add_f64 v[156:157], v[184:185], v[154:155]
	v_fma_f64 v[32:33], v[32:33], v[166:167], -v[34:35]
	v_fma_f64 v[34:35], v[60:61], v[168:169], v[42:43]
	v_fma_f64 v[42:43], v[52:53], v[172:173], v[158:159]
	v_mul_f64 v[158:159], v[58:59], v[180:181]
	v_mul_f64 v[58:59], v[58:59], v[182:183]
	v_fma_f64 v[38:39], v[60:61], v[170:171], -v[38:39]
	v_mul_f64 v[54:55], v[54:55], v[172:173]
	v_add_f64 v[60:61], v[156:157], v[62:63]
	v_mul_f64 v[156:157], v[46:47], v[178:179]
	v_mul_f64 v[46:47], v[46:47], v[176:177]
	v_add_f64 v[160:161], v[62:63], v[42:43]
	v_fma_f64 v[158:159], v[56:57], v[182:183], -v[158:159]
	v_fma_f64 v[56:57], v[56:57], v[180:181], v[58:59]
	s_waitcnt lgkmcnt(0)
	v_mul_f64 v[58:59], v[66:67], v[190:191]
	v_mul_f64 v[66:67], v[66:67], v[188:189]
	v_fma_f64 v[52:53], v[52:53], v[174:175], -v[54:55]
	v_fma_f64 v[54:55], v[44:45], v[176:177], v[156:157]
	v_fma_f64 v[44:45], v[44:45], v[178:179], -v[46:47]
	v_fma_f64 v[156:157], v[160:161], -0.5, v[184:185]
	v_add_f64 v[160:161], v[40:41], -v[158:159]
	v_add_f64 v[164:165], v[154:155], -v[62:63]
	v_fma_f64 v[46:47], v[64:65], v[188:189], v[58:59]
	v_fma_f64 v[58:59], v[64:65], v[190:191], -v[66:67]
	v_add_f64 v[64:65], v[154:155], v[56:57]
	v_add_f64 v[166:167], v[56:57], -v[42:43]
	s_mov_b32 s7, 0x3fee6f0e
	s_mov_b32 s6, s4
	v_add_f64 v[60:61], v[60:61], v[42:43]
	v_fma_f64 v[66:67], v[160:161], s[4:5], v[156:157]
	v_add_f64 v[162:163], v[32:33], -v[52:53]
	v_fma_f64 v[156:157], v[160:161], s[6:7], v[156:157]
	v_fma_f64 v[64:65], v[64:65], -0.5, v[184:185]
	v_add_f64 v[164:165], v[164:165], v[166:167]
	v_add_f64 v[166:167], v[32:33], v[52:53]
	s_mov_b32 s16, 0x4755a5e
	s_mov_b32 s17, 0xbfe2cf23
	;; [unrolled: 1-line block ×4, first 2 shown]
	v_add_f64 v[60:61], v[60:61], v[56:57]
	v_fma_f64 v[66:67], v[162:163], s[16:17], v[66:67]
	v_fma_f64 v[156:157], v[162:163], s[14:15], v[156:157]
	;; [unrolled: 1-line block ×3, first 2 shown]
	v_add_f64 v[170:171], v[62:63], -v[154:155]
	v_add_f64 v[172:173], v[42:43], -v[56:57]
	v_add_f64 v[174:175], v[186:187], v[40:41]
	v_fma_f64 v[166:167], v[166:167], -0.5, v[186:187]
	v_add_f64 v[56:57], v[154:155], -v[56:57]
	v_fma_f64 v[66:67], v[164:165], s[18:19], v[66:67]
	v_fma_f64 v[154:155], v[164:165], s[18:19], v[156:157]
	;; [unrolled: 1-line block ×4, first 2 shown]
	v_add_f64 v[164:165], v[170:171], v[172:173]
	v_add_f64 v[162:163], v[174:175], v[32:33]
	v_add_f64 v[42:43], v[62:63], -v[42:43]
	v_fma_f64 v[168:169], v[56:57], s[6:7], v[166:167]
	v_add_f64 v[62:63], v[40:41], -v[32:33]
	v_add_f64 v[170:171], v[158:159], -v[52:53]
	v_fma_f64 v[166:167], v[56:57], s[4:5], v[166:167]
	v_add_f64 v[172:173], v[40:41], v[158:159]
	v_fma_f64 v[64:65], v[160:161], s[14:15], v[64:65]
	v_add_f64 v[160:161], v[162:163], v[52:53]
	v_add_f64 v[162:163], v[34:35], v[54:55]
	v_fma_f64 v[168:169], v[42:43], s[14:15], v[168:169]
	v_fma_f64 v[156:157], v[164:165], s[18:19], v[156:157]
	v_add_f64 v[62:63], v[62:63], v[170:171]
	v_fma_f64 v[166:167], v[42:43], s[16:17], v[166:167]
	v_fma_f64 v[170:171], v[172:173], -0.5, v[186:187]
	v_fma_f64 v[64:65], v[164:165], s[18:19], v[64:65]
	v_add_f64 v[164:165], v[152:153], v[50:51]
	v_fma_f64 v[162:163], v[162:163], -0.5, v[152:153]
	v_add_f64 v[172:173], v[36:37], -v[58:59]
	v_add_f64 v[32:33], v[32:33], -v[40:41]
	v_fma_f64 v[168:169], v[62:63], s[18:19], v[168:169]
	v_fma_f64 v[166:167], v[62:63], s[18:19], v[166:167]
	;; [unrolled: 1-line block ×3, first 2 shown]
	v_add_f64 v[40:41], v[52:53], -v[158:159]
	v_fma_f64 v[42:43], v[42:43], s[6:7], v[170:171]
	v_add_f64 v[160:161], v[160:161], v[158:159]
	v_add_f64 v[52:53], v[164:165], v[34:35]
	v_fma_f64 v[158:159], v[172:173], s[4:5], v[162:163]
	v_add_f64 v[164:165], v[38:39], -v[44:45]
	v_add_f64 v[170:171], v[50:51], -v[34:35]
	;; [unrolled: 1-line block ×3, first 2 shown]
	v_fma_f64 v[62:63], v[56:57], s[14:15], v[62:63]
	v_add_f64 v[178:179], v[38:39], v[44:45]
	v_add_f64 v[32:33], v[32:33], v[40:41]
	v_fma_f64 v[40:41], v[56:57], s[16:17], v[42:43]
	v_add_f64 v[176:177], v[50:51], v[46:47]
	v_add_f64 v[42:43], v[52:53], v[54:55]
	v_fma_f64 v[52:53], v[164:165], s[16:17], v[158:159]
	v_add_f64 v[56:57], v[170:171], v[174:175]
	v_fma_f64 v[158:159], v[172:173], s[6:7], v[162:163]
	v_fma_f64 v[162:163], v[178:179], -0.5, v[48:49]
	v_add_f64 v[170:171], v[50:51], -v[46:47]
	v_fma_f64 v[62:63], v[32:33], s[18:19], v[62:63]
	v_fma_f64 v[174:175], v[32:33], s[18:19], v[40:41]
	v_add_f64 v[32:33], v[36:37], v[58:59]
	v_fma_f64 v[152:153], v[176:177], -0.5, v[152:153]
	v_add_f64 v[176:177], v[42:43], v[46:47]
	v_fma_f64 v[42:43], v[56:57], s[18:19], v[52:53]
	v_fma_f64 v[52:53], v[164:165], s[14:15], v[158:159]
	;; [unrolled: 1-line block ×3, first 2 shown]
	v_add_f64 v[178:179], v[34:35], -v[54:55]
	v_add_f64 v[180:181], v[36:37], -v[38:39]
	;; [unrolled: 1-line block ×3, first 2 shown]
	v_fma_f64 v[32:33], v[32:33], -0.5, v[48:49]
	v_add_f64 v[48:49], v[48:49], v[36:37]
	v_fma_f64 v[40:41], v[164:165], s[6:7], v[152:153]
	v_add_f64 v[34:35], v[34:35], -v[50:51]
	v_add_f64 v[46:47], v[54:55], -v[46:47]
	v_fma_f64 v[50:51], v[164:165], s[4:5], v[152:153]
	v_fma_f64 v[54:55], v[178:179], s[14:15], v[158:159]
	v_add_f64 v[152:153], v[180:181], v[182:183]
	v_fma_f64 v[158:159], v[178:179], s[4:5], v[32:33]
	v_add_f64 v[36:37], v[38:39], -v[36:37]
	v_add_f64 v[164:165], v[44:45], -v[58:59]
	v_fma_f64 v[32:33], v[178:179], s[6:7], v[32:33]
	v_add_f64 v[38:39], v[48:49], v[38:39]
	v_fma_f64 v[48:49], v[170:171], s[4:5], v[162:163]
	v_add_f64 v[34:35], v[34:35], v[46:47]
	v_fma_f64 v[46:47], v[172:173], s[14:15], v[50:51]
	v_fma_f64 v[50:51], v[152:153], s[18:19], v[54:55]
	;; [unrolled: 1-line block ×3, first 2 shown]
	v_add_f64 v[36:37], v[36:37], v[164:165]
	v_fma_f64 v[40:41], v[172:173], s[16:17], v[40:41]
	v_fma_f64 v[32:33], v[170:171], s[16:17], v[32:33]
	v_add_f64 v[38:39], v[38:39], v[44:45]
	v_fma_f64 v[44:45], v[178:179], s[16:17], v[48:49]
	v_fma_f64 v[48:49], v[56:57], s[18:19], v[52:53]
	s_mov_b32 s22, 0x9b97f4a8
	s_mov_b32 s23, 0x3fe9e377
	v_fma_f64 v[52:53], v[36:37], s[18:19], v[54:55]
	v_fma_f64 v[40:41], v[34:35], s[18:19], v[40:41]
	v_fma_f64 v[34:35], v[34:35], s[18:19], v[46:47]
	v_mul_f64 v[46:47], v[50:51], s[16:17]
	v_fma_f64 v[36:37], v[36:37], s[18:19], v[32:33]
	v_add_f64 v[54:55], v[38:39], v[58:59]
	v_fma_f64 v[38:39], v[152:153], s[18:19], v[44:45]
	v_mul_f64 v[50:51], v[50:51], s[22:23]
	v_mul_f64 v[44:45], v[52:53], s[4:5]
	s_mov_b32 s21, 0xbfd3c6ef
	s_mov_b32 s20, s18
	v_mul_f64 v[52:53], v[52:53], s[18:19]
	v_fma_f64 v[56:57], v[42:43], s[22:23], v[46:47]
	v_mul_f64 v[46:47], v[36:37], s[4:5]
	s_mov_b32 s25, 0xbfe9e377
	s_mov_b32 s24, s22
	v_mul_f64 v[152:153], v[36:37], s[20:21]
	v_mul_f64 v[58:59], v[38:39], s[16:17]
	;; [unrolled: 1-line block ×3, first 2 shown]
	v_fma_f64 v[164:165], v[42:43], s[14:15], v[50:51]
	v_fma_f64 v[158:159], v[40:41], s[18:19], v[44:45]
	;; [unrolled: 1-line block ×4, first 2 shown]
	v_add_f64 v[32:33], v[60:61], v[176:177]
	v_fma_f64 v[172:173], v[34:35], s[6:7], v[152:153]
	v_fma_f64 v[58:59], v[48:49], s[24:25], v[58:59]
	v_fma_f64 v[178:179], v[48:49], s[14:15], v[38:39]
	v_add_f64 v[34:35], v[160:161], v[54:55]
	v_add_f64 v[36:37], v[66:67], v[56:57]
	;; [unrolled: 1-line block ×9, first 2 shown]
	v_add_f64 v[52:53], v[60:61], -v[176:177]
	v_add_f64 v[54:55], v[160:161], -v[54:55]
	;; [unrolled: 1-line block ×10, first 2 shown]
	s_barrier
	ds_write_b128 v200, v[32:35]
	ds_write_b128 v200, v[36:39] offset:64
	ds_write_b128 v200, v[40:43] offset:128
	;; [unrolled: 1-line block ×9, first 2 shown]
	s_waitcnt lgkmcnt(0)
	s_barrier
	ds_read_b128 v[32:35], v193 offset:3840
	ds_read_b128 v[36:39], v193 offset:7680
	;; [unrolled: 1-line block ×6, first 2 shown]
	s_waitcnt lgkmcnt(5)
	v_mul_f64 v[156:157], v[98:99], v[34:35]
	v_mul_f64 v[98:99], v[98:99], v[32:33]
	s_waitcnt lgkmcnt(4)
	v_mul_f64 v[158:159], v[86:87], v[38:39]
	v_mul_f64 v[86:87], v[86:87], v[36:37]
	ds_read_b128 v[56:59], v193 offset:26880
	ds_read_b128 v[60:63], v193 offset:30720
	ds_read_b128 v[64:67], v193
	ds_read_b128 v[152:155], v193 offset:34560
	s_waitcnt lgkmcnt(0)
	s_barrier
	v_fma_f64 v[32:33], v[96:97], v[32:33], v[156:157]
	v_mul_f64 v[156:157], v[70:71], v[46:47]
	v_fma_f64 v[34:35], v[96:97], v[34:35], -v[98:99]
	v_mul_f64 v[96:97], v[94:95], v[54:55]
	v_mul_f64 v[70:71], v[70:71], v[44:45]
	;; [unrolled: 1-line block ×4, first 2 shown]
	v_fma_f64 v[38:39], v[84:85], v[38:39], -v[86:87]
	v_fma_f64 v[36:37], v[84:85], v[36:37], v[158:159]
	v_fma_f64 v[44:45], v[68:69], v[44:45], v[156:157]
	v_mul_f64 v[84:85], v[110:111], v[50:51]
	v_fma_f64 v[86:87], v[92:93], v[52:53], v[96:97]
	v_mul_f64 v[96:97], v[102:103], v[60:61]
	v_fma_f64 v[46:47], v[68:69], v[46:47], -v[70:71]
	v_mul_f64 v[70:71], v[102:103], v[62:63]
	v_fma_f64 v[40:41], v[72:73], v[40:41], v[98:99]
	v_fma_f64 v[42:43], v[72:73], v[42:43], -v[74:75]
	v_mul_f64 v[68:69], v[110:111], v[48:49]
	v_mul_f64 v[52:53], v[94:95], v[52:53]
	v_add_f64 v[72:73], v[44:45], v[86:87]
	v_fma_f64 v[62:63], v[100:101], v[62:63], -v[96:97]
	v_mul_f64 v[74:75], v[106:107], v[58:59]
	v_fma_f64 v[60:61], v[100:101], v[60:61], v[70:71]
	v_fma_f64 v[48:49], v[108:109], v[48:49], v[84:85]
	v_mul_f64 v[84:85], v[106:107], v[56:57]
	v_fma_f64 v[50:51], v[108:109], v[50:51], -v[68:69]
	v_add_f64 v[68:69], v[64:65], v[36:37]
	v_fma_f64 v[70:71], v[72:73], -0.5, v[64:65]
	v_add_f64 v[72:73], v[38:39], -v[62:63]
	v_fma_f64 v[52:53], v[92:93], v[54:55], -v[52:53]
	v_fma_f64 v[54:55], v[104:105], v[56:57], v[74:75]
	v_add_f64 v[74:75], v[36:37], v[60:61]
	v_fma_f64 v[56:57], v[104:105], v[58:59], -v[84:85]
	v_mul_f64 v[84:85], v[114:115], v[152:153]
	v_add_f64 v[68:69], v[68:69], v[44:45]
	v_add_f64 v[96:97], v[36:37], -v[44:45]
	v_fma_f64 v[92:93], v[72:73], s[4:5], v[70:71]
	v_add_f64 v[94:95], v[46:47], -v[52:53]
	v_add_f64 v[98:99], v[60:61], -v[86:87]
	v_fma_f64 v[70:71], v[72:73], s[6:7], v[70:71]
	v_fma_f64 v[64:65], v[74:75], -0.5, v[64:65]
	v_fma_f64 v[74:75], v[112:113], v[154:155], -v[84:85]
	v_add_f64 v[68:69], v[68:69], v[86:87]
	v_add_f64 v[84:85], v[46:47], v[52:53]
	v_add_f64 v[100:101], v[44:45], -v[36:37]
	v_fma_f64 v[92:93], v[94:95], s[16:17], v[92:93]
	v_add_f64 v[96:97], v[96:97], v[98:99]
	v_fma_f64 v[70:71], v[94:95], s[14:15], v[70:71]
	v_fma_f64 v[98:99], v[94:95], s[6:7], v[64:65]
	v_add_f64 v[102:103], v[86:87], -v[60:61]
	v_add_f64 v[104:105], v[66:67], v[38:39]
	v_fma_f64 v[84:85], v[84:85], -0.5, v[66:67]
	v_add_f64 v[36:37], v[36:37], -v[60:61]
	v_add_f64 v[68:69], v[68:69], v[60:61]
	v_fma_f64 v[92:93], v[96:97], s[18:19], v[92:93]
	v_fma_f64 v[70:71], v[96:97], s[18:19], v[70:71]
	;; [unrolled: 1-line block ×3, first 2 shown]
	v_add_f64 v[96:97], v[100:101], v[102:103]
	v_fma_f64 v[64:65], v[94:95], s[4:5], v[64:65]
	v_add_f64 v[94:95], v[104:105], v[46:47]
	v_mul_f64 v[58:59], v[114:115], v[154:155]
	v_fma_f64 v[98:99], v[36:37], s[6:7], v[84:85]
	v_add_f64 v[44:45], v[44:45], -v[86:87]
	v_add_f64 v[86:87], v[38:39], -v[46:47]
	;; [unrolled: 1-line block ×3, first 2 shown]
	v_fma_f64 v[84:85], v[36:37], s[4:5], v[84:85]
	v_add_f64 v[102:103], v[38:39], v[62:63]
	v_fma_f64 v[64:65], v[72:73], s[14:15], v[64:65]
	v_add_f64 v[72:73], v[94:95], v[52:53]
	;; [unrolled: 2-line block ×3, first 2 shown]
	v_fma_f64 v[58:59], v[112:113], v[152:153], v[58:59]
	v_fma_f64 v[98:99], v[44:45], s[14:15], v[98:99]
	v_add_f64 v[86:87], v[86:87], v[100:101]
	v_fma_f64 v[84:85], v[44:45], s[16:17], v[84:85]
	v_fma_f64 v[66:67], v[102:103], -0.5, v[66:67]
	v_fma_f64 v[96:97], v[96:97], s[18:19], v[64:65]
	v_add_f64 v[64:65], v[32:33], v[40:41]
	v_fma_f64 v[60:61], v[60:61], -0.5, v[32:33]
	v_add_f64 v[100:101], v[42:43], -v[74:75]
	v_add_f64 v[72:73], v[72:73], v[62:63]
	v_fma_f64 v[98:99], v[86:87], s[18:19], v[98:99]
	v_fma_f64 v[84:85], v[86:87], s[18:19], v[84:85]
	;; [unrolled: 1-line block ×3, first 2 shown]
	v_add_f64 v[38:39], v[46:47], -v[38:39]
	v_add_f64 v[46:47], v[52:53], -v[62:63]
	v_fma_f64 v[44:45], v[44:45], s[6:7], v[66:67]
	v_add_f64 v[52:53], v[64:65], v[48:49]
	v_fma_f64 v[62:63], v[100:101], s[4:5], v[60:61]
	v_add_f64 v[64:65], v[50:51], -v[56:57]
	v_add_f64 v[102:103], v[40:41], -v[48:49]
	;; [unrolled: 1-line block ×3, first 2 shown]
	v_add_f64 v[66:67], v[40:41], v[58:59]
	v_add_f64 v[106:107], v[50:51], v[56:57]
	v_fma_f64 v[86:87], v[36:37], s[14:15], v[86:87]
	v_add_f64 v[38:39], v[38:39], v[46:47]
	v_fma_f64 v[36:37], v[36:37], s[16:17], v[44:45]
	;; [unrolled: 2-line block ×3, first 2 shown]
	v_add_f64 v[52:53], v[102:103], v[104:105]
	v_add_f64 v[102:103], v[42:43], v[74:75]
	v_fma_f64 v[32:33], v[66:67], -0.5, v[32:33]
	v_fma_f64 v[62:63], v[106:107], -0.5, v[34:35]
	v_add_f64 v[66:67], v[40:41], -v[58:59]
	v_fma_f64 v[86:87], v[38:39], s[18:19], v[86:87]
	v_fma_f64 v[106:107], v[38:39], s[18:19], v[36:37]
	v_add_f64 v[36:37], v[44:45], v[58:59]
	v_fma_f64 v[38:39], v[52:53], s[18:19], v[46:47]
	v_add_f64 v[46:47], v[48:49], -v[54:55]
	v_fma_f64 v[102:103], v[102:103], -0.5, v[34:35]
	v_add_f64 v[40:41], v[48:49], -v[40:41]
	v_fma_f64 v[44:45], v[66:67], s[6:7], v[62:63]
	v_add_f64 v[48:49], v[42:43], -v[50:51]
	v_add_f64 v[108:109], v[74:75], -v[56:57]
	v_add_f64 v[34:35], v[34:35], v[42:43]
	v_add_f64 v[42:43], v[50:51], -v[42:43]
	v_add_f64 v[112:113], v[56:57], -v[74:75]
	v_fma_f64 v[110:111], v[46:47], s[4:5], v[102:103]
	v_fma_f64 v[102:103], v[46:47], s[6:7], v[102:103]
	;; [unrolled: 1-line block ×5, first 2 shown]
	v_add_f64 v[48:49], v[48:49], v[108:109]
	v_fma_f64 v[104:105], v[64:65], s[6:7], v[32:33]
	v_add_f64 v[54:55], v[54:55], -v[58:59]
	v_fma_f64 v[32:33], v[64:65], s[4:5], v[32:33]
	v_add_f64 v[34:35], v[34:35], v[50:51]
	v_fma_f64 v[50:51], v[66:67], s[14:15], v[110:111]
	v_add_f64 v[42:43], v[42:43], v[112:113]
	v_fma_f64 v[58:59], v[66:67], s[16:17], v[102:103]
	v_fma_f64 v[46:47], v[46:47], s[16:17], v[62:63]
	;; [unrolled: 1-line block ×5, first 2 shown]
	v_add_f64 v[40:41], v[40:41], v[54:55]
	v_fma_f64 v[32:33], v[100:101], s[14:15], v[32:33]
	v_fma_f64 v[50:51], v[42:43], s[18:19], v[50:51]
	;; [unrolled: 1-line block ×4, first 2 shown]
	v_add_f64 v[34:35], v[34:35], v[56:57]
	v_fma_f64 v[54:55], v[52:53], s[18:19], v[60:61]
	v_mul_f64 v[52:53], v[44:45], s[16:17]
	v_mul_f64 v[44:45], v[44:45], s[22:23]
	v_fma_f64 v[56:57], v[40:41], s[18:19], v[104:105]
	v_fma_f64 v[32:33], v[40:41], s[18:19], v[32:33]
	v_mul_f64 v[40:41], v[50:51], s[4:5]
	v_mul_f64 v[50:51], v[50:51], s[18:19]
	;; [unrolled: 1-line block ×6, first 2 shown]
	v_add_f64 v[34:35], v[34:35], v[74:75]
	v_fma_f64 v[74:75], v[38:39], s[22:23], v[52:53]
	v_fma_f64 v[38:39], v[38:39], s[14:15], v[44:45]
	;; [unrolled: 1-line block ×8, first 2 shown]
	v_add_f64 v[48:49], v[68:69], v[36:37]
	v_add_f64 v[50:51], v[72:73], v[34:35]
	v_add_f64 v[52:53], v[92:93], v[74:75]
	v_add_f64 v[54:55], v[98:99], v[38:39]
	v_add_f64 v[56:57], v[94:95], v[40:41]
	v_add_f64 v[58:59], v[86:87], v[104:105]
	v_add_f64 v[60:61], v[96:97], v[100:101]
	v_add_f64 v[62:63], v[106:107], v[42:43]
	v_add_f64 v[64:65], v[70:71], v[102:103]
	v_add_f64 v[66:67], v[84:85], v[46:47]
	v_add_f64 v[68:69], v[68:69], -v[36:37]
	v_add_f64 v[44:45], v[70:71], -v[102:103]
	;; [unrolled: 1-line block ×10, first 2 shown]
	ds_write_b128 v201, v[48:51]
	ds_write_b128 v201, v[52:55] offset:640
	ds_write_b128 v201, v[56:59] offset:1280
	;; [unrolled: 1-line block ×9, first 2 shown]
	s_waitcnt lgkmcnt(0)
	s_barrier
	ds_read_b128 v[48:51], v193
	ds_read_b128 v[52:55], v193 offset:6400
	ds_read_b128 v[64:67], v193 offset:12800
	;; [unrolled: 1-line block ×5, first 2 shown]
	s_and_saveexec_b64 s[4:5], s[2:3]
	s_cbranch_execz .LBB0_19
; %bb.18:
	ds_read_b128 v[36:39], v193 offset:10240
	ds_read_b128 v[40:43], v193 offset:16640
	;; [unrolled: 1-line block ×6, first 2 shown]
.LBB0_19:
	s_or_b64 exec, exec, s[4:5]
	s_waitcnt lgkmcnt(3)
	v_mul_f64 v[72:73], v[142:143], v[66:67]
	s_waitcnt lgkmcnt(1)
	v_mul_f64 v[74:75], v[138:139], v[70:71]
	v_mul_f64 v[86:87], v[130:131], v[56:57]
	s_waitcnt lgkmcnt(0)
	v_mul_f64 v[94:95], v[134:135], v[60:61]
	v_mul_f64 v[84:85], v[142:143], v[64:65]
	;; [unrolled: 1-line block ×4, first 2 shown]
	s_mov_b32 s4, 0xe8584caa
	v_fma_f64 v[64:65], v[140:141], v[64:65], v[72:73]
	v_fma_f64 v[68:69], v[136:137], v[68:69], v[74:75]
	v_mul_f64 v[72:73], v[126:127], v[52:53]
	v_mul_f64 v[74:75], v[130:131], v[58:59]
	v_fma_f64 v[58:59], v[128:129], v[58:59], -v[86:87]
	v_fma_f64 v[62:63], v[132:133], v[62:63], -v[94:95]
	;; [unrolled: 1-line block ×4, first 2 shown]
	v_mul_f64 v[86:87], v[126:127], v[54:55]
	v_add_f64 v[84:85], v[64:65], v[68:69]
	v_fma_f64 v[54:55], v[124:125], v[54:55], -v[72:73]
	v_fma_f64 v[56:57], v[128:129], v[56:57], v[74:75]
	v_fma_f64 v[60:61], v[132:133], v[60:61], v[96:97]
	v_add_f64 v[92:93], v[58:59], v[62:63]
	v_add_f64 v[72:73], v[48:49], v[64:65]
	v_add_f64 v[74:75], v[66:67], -v[70:71]
	v_fma_f64 v[52:53], v[124:125], v[52:53], v[86:87]
	v_fma_f64 v[48:49], v[84:85], -0.5, v[48:49]
	s_mov_b32 s5, 0xbfebb67a
	s_mov_b32 s7, 0x3febb67a
	v_add_f64 v[84:85], v[56:57], v[60:61]
	v_add_f64 v[86:87], v[56:57], -v[60:61]
	v_fma_f64 v[92:93], v[92:93], -0.5, v[54:55]
	s_mov_b32 s6, s4
	v_add_f64 v[96:97], v[50:51], v[66:67]
	v_fma_f64 v[94:95], v[74:75], s[4:5], v[48:49]
	v_add_f64 v[66:67], v[66:67], v[70:71]
	v_add_f64 v[98:99], v[58:59], -v[62:63]
	v_fma_f64 v[84:85], v[84:85], -0.5, v[52:53]
	v_fma_f64 v[74:75], v[74:75], s[6:7], v[48:49]
	v_fma_f64 v[48:49], v[86:87], s[6:7], v[92:93]
	;; [unrolled: 1-line block ×3, first 2 shown]
	v_add_f64 v[52:53], v[52:53], v[56:57]
	v_add_f64 v[54:55], v[54:55], v[58:59]
	;; [unrolled: 1-line block ×3, first 2 shown]
	v_fma_f64 v[50:51], v[66:67], -0.5, v[50:51]
	v_add_f64 v[64:65], v[64:65], -v[68:69]
	v_fma_f64 v[56:57], v[98:99], s[4:5], v[84:85]
	v_fma_f64 v[66:67], v[98:99], s[6:7], v[84:85]
	v_mul_f64 v[68:69], v[48:49], s[4:5]
	v_mul_f64 v[84:85], v[86:87], s[4:5]
	v_mul_f64 v[48:49], v[48:49], 0.5
	v_mul_f64 v[58:59], v[86:87], -0.5
	v_add_f64 v[70:71], v[96:97], v[70:71]
	v_add_f64 v[60:61], v[52:53], v[60:61]
	v_add_f64 v[62:63], v[54:55], v[62:63]
	v_fma_f64 v[86:87], v[64:65], s[6:7], v[50:51]
	v_fma_f64 v[92:93], v[64:65], s[4:5], v[50:51]
	v_fma_f64 v[64:65], v[56:57], 0.5, v[68:69]
	v_fma_f64 v[68:69], v[66:67], -0.5, v[84:85]
	v_fma_f64 v[84:85], v[56:57], s[6:7], v[48:49]
	v_fma_f64 v[96:97], v[66:67], s[6:7], v[58:59]
	v_add_f64 v[48:49], v[72:73], v[60:61]
	v_add_f64 v[50:51], v[70:71], v[62:63]
	v_add_f64 v[60:61], v[72:73], -v[60:61]
	v_add_f64 v[62:63], v[70:71], -v[62:63]
	v_add_f64 v[52:53], v[94:95], v[64:65]
	v_add_f64 v[56:57], v[74:75], v[68:69]
	;; [unrolled: 1-line block ×4, first 2 shown]
	v_add_f64 v[64:65], v[94:95], -v[64:65]
	v_add_f64 v[66:67], v[86:87], -v[84:85]
	;; [unrolled: 1-line block ×4, first 2 shown]
	ds_write_b128 v193, v[48:51]
	ds_write_b128 v193, v[52:55] offset:6400
	ds_write_b128 v193, v[56:59] offset:12800
	;; [unrolled: 1-line block ×5, first 2 shown]
	s_and_saveexec_b64 s[14:15], s[2:3]
	s_cbranch_execz .LBB0_21
; %bb.20:
	v_mul_f64 v[48:49], v[122:123], v[40:41]
	v_mul_f64 v[50:51], v[90:91], v[44:45]
	;; [unrolled: 1-line block ×7, first 2 shown]
	v_fma_f64 v[42:43], v[120:121], v[42:43], -v[48:49]
	v_fma_f64 v[46:47], v[88:89], v[46:47], -v[50:51]
	v_mul_f64 v[48:49], v[78:79], v[36:37]
	v_fma_f64 v[50:51], v[116:117], v[150:151], -v[52:53]
	v_mul_f64 v[52:53], v[82:83], v[146:147]
	v_fma_f64 v[40:41], v[120:121], v[40:41], v[56:57]
	v_mul_f64 v[56:57], v[78:79], v[38:39]
	v_fma_f64 v[44:45], v[88:89], v[44:45], v[58:59]
	v_fma_f64 v[58:59], v[116:117], v[148:149], v[60:61]
	v_fma_f64 v[54:55], v[80:81], v[146:147], -v[54:55]
	v_fma_f64 v[38:39], v[76:77], v[38:39], -v[48:49]
	v_add_f64 v[48:49], v[50:51], v[46:47]
	v_fma_f64 v[52:53], v[80:81], v[144:145], v[52:53]
	v_add_f64 v[66:67], v[46:47], -v[50:51]
	v_fma_f64 v[36:37], v[76:77], v[36:37], v[56:57]
	v_add_f64 v[68:69], v[42:43], v[34:35]
	v_add_f64 v[60:61], v[58:59], v[44:45]
	v_add_f64 v[62:63], v[44:45], -v[58:59]
	v_add_f64 v[56:57], v[42:43], v[54:55]
	v_fma_f64 v[48:49], v[48:49], -0.5, v[38:39]
	v_add_f64 v[38:39], v[38:39], v[46:47]
	v_add_f64 v[46:47], v[40:41], v[52:53]
	v_add_f64 v[64:65], v[40:41], -v[52:53]
	v_add_f64 v[40:41], v[40:41], v[32:33]
	v_fma_f64 v[60:61], v[60:61], -0.5, v[36:37]
	v_add_f64 v[36:37], v[36:37], v[44:45]
	v_fma_f64 v[34:35], v[56:57], -0.5, v[34:35]
	v_fma_f64 v[70:71], v[62:63], s[4:5], v[48:49]
	v_fma_f64 v[48:49], v[62:63], s[6:7], v[48:49]
	v_add_f64 v[42:43], v[42:43], -v[54:55]
	v_add_f64 v[44:45], v[54:55], v[68:69]
	v_fma_f64 v[32:33], v[46:47], -0.5, v[32:33]
	v_fma_f64 v[54:55], v[66:67], s[6:7], v[60:61]
	v_fma_f64 v[56:57], v[66:67], s[4:5], v[60:61]
	v_add_f64 v[66:67], v[50:51], v[38:39]
	v_mul_f64 v[60:61], v[70:71], -0.5
	v_mul_f64 v[62:63], v[48:49], 0.5
	v_mul_f64 v[38:39], v[48:49], s[4:5]
	v_fma_f64 v[46:47], v[64:65], s[4:5], v[34:35]
	v_fma_f64 v[50:51], v[64:65], s[6:7], v[34:35]
	v_mul_f64 v[34:35], v[70:71], s[4:5]
	v_add_f64 v[40:41], v[52:53], v[40:41]
	v_add_f64 v[36:37], v[58:59], v[36:37]
	v_fma_f64 v[48:49], v[54:55], s[6:7], v[60:61]
	v_fma_f64 v[60:61], v[56:57], s[6:7], v[62:63]
	;; [unrolled: 1-line block ×4, first 2 shown]
	v_fma_f64 v[56:57], v[56:57], 0.5, v[38:39]
	v_fma_f64 v[62:63], v[54:55], -0.5, v[34:35]
	v_add_f64 v[54:55], v[44:45], v[66:67]
	v_add_f64 v[52:53], v[40:41], v[36:37]
	v_add_f64 v[34:35], v[46:47], -v[48:49]
	v_add_f64 v[38:39], v[50:51], -v[60:61]
	v_add_f64 v[46:47], v[46:47], v[48:49]
	v_add_f64 v[50:51], v[50:51], v[60:61]
	v_add_f64 v[48:49], v[32:33], v[56:57]
	v_add_f64 v[42:43], v[44:45], -v[66:67]
	v_add_f64 v[44:45], v[58:59], v[62:63]
	v_add_f64 v[40:41], v[40:41], -v[36:37]
	v_add_f64 v[36:37], v[32:33], -v[56:57]
	v_add_f64 v[32:33], v[58:59], -v[62:63]
	ds_write_b128 v193, v[52:55] offset:3840
	ds_write_b128 v193, v[48:51] offset:10240
	;; [unrolled: 1-line block ×6, first 2 shown]
.LBB0_21:
	s_or_b64 exec, exec, s[14:15]
	s_waitcnt lgkmcnt(0)
	s_barrier
	ds_read_b128 v[32:35], v193
	ds_read_b128 v[36:39], v193 offset:3840
	v_mad_u64_u32 v[40:41], s[2:3], s10, v192, 0
	v_mov_b32_e32 v50, s13
	s_waitcnt lgkmcnt(1)
	v_mul_f64 v[42:43], v[30:31], v[34:35]
	v_mul_f64 v[30:31], v[30:31], v[32:33]
	s_mul_hi_u32 s7, s8, 0xfffff9e8
	s_mul_i32 s6, s9, 0xfffff9e8
	s_sub_i32 s7, s7, s8
	s_add_i32 s7, s7, s6
	s_mul_i32 s6, s8, 0xfffff9e8
	s_lshl_b64 s[6:7], s[6:7], 4
	v_mad_u64_u32 v[44:45], s[2:3], s11, v192, v[41:42]
	v_fma_f64 v[32:33], v[28:29], v[32:33], v[42:43]
	v_fma_f64 v[30:31], v[28:29], v[34:35], -v[30:31]
	v_mov_b32_e32 v41, v44
	v_mad_u64_u32 v[44:45], s[2:3], s8, v196, 0
	s_mov_b32 s2, 0xb4e81b4f
	s_mov_b32 s3, 0x3f3b4e81
	v_mov_b32_e32 v28, v45
	v_mad_u64_u32 v[42:43], s[4:5], s9, v196, v[28:29]
	v_mul_f64 v[28:29], v[32:33], s[2:3]
	ds_read_b128 v[32:35], v193 offset:9600
	v_mov_b32_e32 v45, v42
	v_lshlrev_b64 v[46:47], 4, v[40:41]
	ds_read_b128 v[40:43], v193 offset:13440
	v_mul_f64 v[30:31], v[30:31], s[2:3]
	s_waitcnt lgkmcnt(1)
	v_mul_f64 v[48:49], v[2:3], v[34:35]
	v_mul_f64 v[2:3], v[2:3], v[32:33]
	v_add_co_u32_e32 v46, vcc, s12, v46
	v_lshlrev_b64 v[44:45], 4, v[44:45]
	v_addc_co_u32_e32 v47, vcc, v50, v47, vcc
	s_mul_i32 s4, s9, 0x258
	v_fma_f64 v[32:33], v[0:1], v[32:33], v[48:49]
	v_fma_f64 v[34:35], v[0:1], v[34:35], -v[2:3]
	ds_read_b128 v[0:3], v193 offset:19200
	v_add_co_u32_e32 v48, vcc, v46, v44
	v_addc_co_u32_e32 v49, vcc, v47, v45, vcc
	global_store_dwordx4 v[48:49], v[28:31], off
	ds_read_b128 v[44:47], v193 offset:28800
	v_mul_f64 v[28:29], v[32:33], s[2:3]
	v_mul_f64 v[30:31], v[34:35], s[2:3]
	ds_read_b128 v[32:35], v193 offset:23040
	s_waitcnt lgkmcnt(2)
	v_mul_f64 v[50:51], v[6:7], v[2:3]
	v_mul_f64 v[6:7], v[6:7], v[0:1]
	s_mul_hi_u32 s5, s8, 0x258
	s_add_i32 s5, s5, s4
	s_mul_i32 s4, s8, 0x258
	s_lshl_b64 s[4:5], s[4:5], 4
	v_mov_b32_e32 v54, s5
	v_add_co_u32_e32 v48, vcc, s4, v48
	v_fma_f64 v[50:51], v[4:5], v[0:1], v[50:51]
	v_fma_f64 v[6:7], v[4:5], v[2:3], -v[6:7]
	ds_read_b128 v[0:3], v193 offset:32640
	s_waitcnt lgkmcnt(2)
	v_mul_f64 v[52:53], v[10:11], v[46:47]
	v_mul_f64 v[10:11], v[10:11], v[44:45]
	v_addc_co_u32_e32 v49, vcc, v49, v54, vcc
	global_store_dwordx4 v[48:49], v[28:31], off
	v_mul_f64 v[4:5], v[50:51], s[2:3]
	v_mul_f64 v[30:31], v[14:15], v[38:39]
	;; [unrolled: 1-line block ×3, first 2 shown]
	v_fma_f64 v[28:29], v[8:9], v[44:45], v[52:53]
	v_fma_f64 v[10:11], v[8:9], v[46:47], -v[10:11]
	v_mul_f64 v[6:7], v[6:7], s[2:3]
	v_add_co_u32_e32 v44, vcc, s4, v48
	v_addc_co_u32_e32 v45, vcc, v49, v54, vcc
	v_mul_f64 v[8:9], v[28:29], s[2:3]
	v_mul_f64 v[10:11], v[10:11], s[2:3]
	v_fma_f64 v[28:29], v[12:13], v[36:37], v[30:31]
	v_fma_f64 v[12:13], v[12:13], v[38:39], -v[14:15]
	v_add_co_u32_e32 v14, vcc, s4, v44
	v_addc_co_u32_e32 v15, vcc, v45, v54, vcc
	global_store_dwordx4 v[44:45], v[4:7], off
	global_store_dwordx4 v[14:15], v[8:11], off
	v_mul_f64 v[4:5], v[28:29], s[2:3]
	v_mul_f64 v[8:9], v[18:19], v[42:43]
	;; [unrolled: 1-line block ×4, first 2 shown]
	s_waitcnt lgkmcnt(1)
	v_mul_f64 v[12:13], v[22:23], v[34:35]
	s_waitcnt lgkmcnt(0)
	v_mul_f64 v[18:19], v[26:27], v[2:3]
	v_mov_b32_e32 v28, s7
	v_add_co_u32_e32 v14, vcc, s6, v14
	v_fma_f64 v[8:9], v[16:17], v[40:41], v[8:9]
	v_fma_f64 v[10:11], v[16:17], v[42:43], -v[10:11]
	v_mul_f64 v[16:17], v[22:23], v[32:33]
	v_mul_f64 v[22:23], v[26:27], v[0:1]
	v_addc_co_u32_e32 v15, vcc, v15, v28, vcc
	global_store_dwordx4 v[14:15], v[4:7], off
	v_add_co_u32_e32 v14, vcc, s4, v14
	v_mul_f64 v[4:5], v[8:9], s[2:3]
	v_mul_f64 v[6:7], v[10:11], s[2:3]
	v_fma_f64 v[8:9], v[20:21], v[32:33], v[12:13]
	v_fma_f64 v[10:11], v[20:21], v[34:35], -v[16:17]
	v_fma_f64 v[12:13], v[24:25], v[0:1], v[18:19]
	v_fma_f64 v[16:17], v[24:25], v[2:3], -v[22:23]
	v_addc_co_u32_e32 v15, vcc, v15, v54, vcc
	global_store_dwordx4 v[14:15], v[4:7], off
	v_mul_f64 v[0:1], v[8:9], s[2:3]
	v_mul_f64 v[2:3], v[10:11], s[2:3]
	;; [unrolled: 1-line block ×4, first 2 shown]
	v_add_co_u32_e32 v8, vcc, s4, v14
	v_addc_co_u32_e32 v9, vcc, v15, v54, vcc
	global_store_dwordx4 v[8:9], v[0:3], off
	s_nop 0
	v_add_co_u32_e32 v0, vcc, s4, v8
	v_addc_co_u32_e32 v1, vcc, v9, v54, vcc
	global_store_dwordx4 v[0:1], v[4:7], off
	s_and_b64 exec, exec, s[0:1]
	s_cbranch_execz .LBB0_23
; %bb.22:
	v_add_co_u32_e32 v10, vcc, 0x1000, v194
	v_addc_co_u32_e32 v11, vcc, 0, v195, vcc
	s_movk_i32 s0, 0x4000
	v_add_co_u32_e32 v12, vcc, s0, v194
	v_addc_co_u32_e32 v13, vcc, 0, v195, vcc
	s_movk_i32 s0, 0x6000
	global_load_dwordx4 v[2:5], v[10:11], off offset:3584
	global_load_dwordx4 v[6:9], v[12:13], off offset:896
	v_add_co_u32_e32 v10, vcc, s0, v194
	v_addc_co_u32_e32 v11, vcc, 0, v195, vcc
	s_mov_b32 s0, 0x8000
	v_add_co_u32_e32 v14, vcc, s0, v194
	global_load_dwordx4 v[10:13], v[10:11], off offset:2304
	v_addc_co_u32_e32 v15, vcc, 0, v195, vcc
	global_load_dwordx4 v[14:17], v[14:15], off offset:3712
	ds_read_b128 v[18:21], v193 offset:17280
	ds_read_b128 v[22:25], v193 offset:26880
	;; [unrolled: 1-line block ×4, first 2 shown]
	v_mov_b32_e32 v35, s7
	v_add_co_u32_e32 v34, vcc, s6, v0
	v_addc_co_u32_e32 v35, vcc, v1, v35, vcc
	v_mov_b32_e32 v46, s5
	v_add_co_u32_e32 v36, vcc, s4, v34
	v_addc_co_u32_e32 v37, vcc, v35, v46, vcc
	v_add_co_u32_e32 v38, vcc, s4, v36
	v_addc_co_u32_e32 v39, vcc, v37, v46, vcc
	s_waitcnt vmcnt(3) lgkmcnt(1)
	v_mul_f64 v[0:1], v[28:29], v[4:5]
	v_mul_f64 v[4:5], v[26:27], v[4:5]
	s_waitcnt vmcnt(2)
	v_mul_f64 v[40:41], v[20:21], v[8:9]
	v_mul_f64 v[8:9], v[18:19], v[8:9]
	v_fma_f64 v[0:1], v[26:27], v[2:3], v[0:1]
	s_waitcnt vmcnt(1)
	v_mul_f64 v[42:43], v[24:25], v[12:13]
	v_mul_f64 v[12:13], v[22:23], v[12:13]
	v_fma_f64 v[2:3], v[2:3], v[28:29], -v[4:5]
	s_waitcnt vmcnt(0) lgkmcnt(0)
	v_mul_f64 v[44:45], v[32:33], v[16:17]
	v_mul_f64 v[16:17], v[30:31], v[16:17]
	v_fma_f64 v[4:5], v[18:19], v[6:7], v[40:41]
	v_fma_f64 v[6:7], v[6:7], v[20:21], -v[8:9]
	v_mul_f64 v[0:1], v[0:1], s[2:3]
	v_fma_f64 v[8:9], v[22:23], v[10:11], v[42:43]
	v_fma_f64 v[10:11], v[10:11], v[24:25], -v[12:13]
	;; [unrolled: 3-line block ×3, first 2 shown]
	v_mul_f64 v[4:5], v[4:5], s[2:3]
	v_mul_f64 v[6:7], v[6:7], s[2:3]
	v_add_co_u32_e32 v16, vcc, s4, v38
	v_mul_f64 v[8:9], v[8:9], s[2:3]
	v_mul_f64 v[10:11], v[10:11], s[2:3]
	;; [unrolled: 1-line block ×4, first 2 shown]
	v_addc_co_u32_e32 v17, vcc, v39, v46, vcc
	global_store_dwordx4 v[34:35], v[0:3], off
	global_store_dwordx4 v[36:37], v[4:7], off
	;; [unrolled: 1-line block ×4, first 2 shown]
.LBB0_23:
	s_endpgm
	.section	.rodata,"a",@progbits
	.p2align	6, 0x0
	.amdhsa_kernel bluestein_single_fwd_len2400_dim1_dp_op_CI_CI
		.amdhsa_group_segment_fixed_size 38400
		.amdhsa_private_segment_fixed_size 0
		.amdhsa_kernarg_size 104
		.amdhsa_user_sgpr_count 6
		.amdhsa_user_sgpr_private_segment_buffer 1
		.amdhsa_user_sgpr_dispatch_ptr 0
		.amdhsa_user_sgpr_queue_ptr 0
		.amdhsa_user_sgpr_kernarg_segment_ptr 1
		.amdhsa_user_sgpr_dispatch_id 0
		.amdhsa_user_sgpr_flat_scratch_init 0
		.amdhsa_user_sgpr_private_segment_size 0
		.amdhsa_uses_dynamic_stack 0
		.amdhsa_system_sgpr_private_segment_wavefront_offset 0
		.amdhsa_system_sgpr_workgroup_id_x 1
		.amdhsa_system_sgpr_workgroup_id_y 0
		.amdhsa_system_sgpr_workgroup_id_z 0
		.amdhsa_system_sgpr_workgroup_info 0
		.amdhsa_system_vgpr_workitem_id 0
		.amdhsa_next_free_vgpr 256
		.amdhsa_next_free_sgpr 28
		.amdhsa_reserve_vcc 1
		.amdhsa_reserve_flat_scratch 0
		.amdhsa_float_round_mode_32 0
		.amdhsa_float_round_mode_16_64 0
		.amdhsa_float_denorm_mode_32 3
		.amdhsa_float_denorm_mode_16_64 3
		.amdhsa_dx10_clamp 1
		.amdhsa_ieee_mode 1
		.amdhsa_fp16_overflow 0
		.amdhsa_exception_fp_ieee_invalid_op 0
		.amdhsa_exception_fp_denorm_src 0
		.amdhsa_exception_fp_ieee_div_zero 0
		.amdhsa_exception_fp_ieee_overflow 0
		.amdhsa_exception_fp_ieee_underflow 0
		.amdhsa_exception_fp_ieee_inexact 0
		.amdhsa_exception_int_div_zero 0
	.end_amdhsa_kernel
	.text
.Lfunc_end0:
	.size	bluestein_single_fwd_len2400_dim1_dp_op_CI_CI, .Lfunc_end0-bluestein_single_fwd_len2400_dim1_dp_op_CI_CI
                                        ; -- End function
	.section	.AMDGPU.csdata,"",@progbits
; Kernel info:
; codeLenInByte = 14624
; NumSgprs: 32
; NumVgprs: 256
; ScratchSize: 0
; MemoryBound: 0
; FloatMode: 240
; IeeeMode: 1
; LDSByteSize: 38400 bytes/workgroup (compile time only)
; SGPRBlocks: 3
; VGPRBlocks: 63
; NumSGPRsForWavesPerEU: 32
; NumVGPRsForWavesPerEU: 256
; Occupancy: 1
; WaveLimiterHint : 1
; COMPUTE_PGM_RSRC2:SCRATCH_EN: 0
; COMPUTE_PGM_RSRC2:USER_SGPR: 6
; COMPUTE_PGM_RSRC2:TRAP_HANDLER: 0
; COMPUTE_PGM_RSRC2:TGID_X_EN: 1
; COMPUTE_PGM_RSRC2:TGID_Y_EN: 0
; COMPUTE_PGM_RSRC2:TGID_Z_EN: 0
; COMPUTE_PGM_RSRC2:TIDIG_COMP_CNT: 0
	.type	__hip_cuid_b8f530a3e88606ee,@object ; @__hip_cuid_b8f530a3e88606ee
	.section	.bss,"aw",@nobits
	.globl	__hip_cuid_b8f530a3e88606ee
__hip_cuid_b8f530a3e88606ee:
	.byte	0                               ; 0x0
	.size	__hip_cuid_b8f530a3e88606ee, 1

	.ident	"AMD clang version 19.0.0git (https://github.com/RadeonOpenCompute/llvm-project roc-6.4.0 25133 c7fe45cf4b819c5991fe208aaa96edf142730f1d)"
	.section	".note.GNU-stack","",@progbits
	.addrsig
	.addrsig_sym __hip_cuid_b8f530a3e88606ee
	.amdgpu_metadata
---
amdhsa.kernels:
  - .args:
      - .actual_access:  read_only
        .address_space:  global
        .offset:         0
        .size:           8
        .value_kind:     global_buffer
      - .actual_access:  read_only
        .address_space:  global
        .offset:         8
        .size:           8
        .value_kind:     global_buffer
      - .actual_access:  read_only
        .address_space:  global
        .offset:         16
        .size:           8
        .value_kind:     global_buffer
      - .actual_access:  read_only
        .address_space:  global
        .offset:         24
        .size:           8
        .value_kind:     global_buffer
      - .actual_access:  read_only
        .address_space:  global
        .offset:         32
        .size:           8
        .value_kind:     global_buffer
      - .offset:         40
        .size:           8
        .value_kind:     by_value
      - .address_space:  global
        .offset:         48
        .size:           8
        .value_kind:     global_buffer
      - .address_space:  global
        .offset:         56
        .size:           8
        .value_kind:     global_buffer
      - .address_space:  global
        .offset:         64
        .size:           8
        .value_kind:     global_buffer
      - .address_space:  global
        .offset:         72
        .size:           8
        .value_kind:     global_buffer
      - .offset:         80
        .size:           4
        .value_kind:     by_value
      - .address_space:  global
        .offset:         88
        .size:           8
        .value_kind:     global_buffer
      - .address_space:  global
        .offset:         96
        .size:           8
        .value_kind:     global_buffer
    .group_segment_fixed_size: 38400
    .kernarg_segment_align: 8
    .kernarg_segment_size: 104
    .language:       OpenCL C
    .language_version:
      - 2
      - 0
    .max_flat_workgroup_size: 240
    .name:           bluestein_single_fwd_len2400_dim1_dp_op_CI_CI
    .private_segment_fixed_size: 0
    .sgpr_count:     32
    .sgpr_spill_count: 0
    .symbol:         bluestein_single_fwd_len2400_dim1_dp_op_CI_CI.kd
    .uniform_work_group_size: 1
    .uses_dynamic_stack: false
    .vgpr_count:     256
    .vgpr_spill_count: 0
    .wavefront_size: 64
amdhsa.target:   amdgcn-amd-amdhsa--gfx906
amdhsa.version:
  - 1
  - 2
...

	.end_amdgpu_metadata
